;; amdgpu-corpus repo=ROCm/Tensile kind=harvested arch=n/a opt=n/a

/******************************************/
/* Function Prefix                        */
/******************************************/



/******************************************/
/* Begin Kernel                           */
/******************************************/

// Component.Signature.SignatureDefault
.amdgcn_target "amdgcn-amd-amdhsa--gfx942"
.text
.protected Cijk_Ailk_Bljk_CB_MT96x256x16_MI16x16x4x1_SN_1LDSB1_APM1_AF0EM1_AF1EM1_AMAS3_ASGT_ASLT1257_ASEM1_BL1_BS1_CLR0_DTVA0_DTVB0_ETB_EPS1_ELFLR0_EMLL0_FSSC10_FL0_GLVWA2_GLVWB1_GRCGA1_GRCGB1_GRVWn1_GSU5_GSUAMB_GLS0_IU1_K1_LBSPPA0_LBSPPB128_LPA0_LPB1_LRVW1_MIAV0_MKFGSU256_NTA0_NTB0_NTC0_NTD0_NEPBS4_NLCA3_NLCB1_ONLL1_PK0_PGR2_PLR1_PKA0_SIA3_SS1_SU0_SUM0_SUS0_SPO0_SRVW0_SSO0_SVW2_TSGRA0_TSGRB0_TT6_64_TLDS1_UMLDSA0_UMLDSB1_USFGROn1_VAW1_VSn1_VW2_VWB1_VFLRP0_WSGRA0_WSGRB0_WG16_16_1_WGM1
.globl Cijk_Ailk_Bljk_CB_MT96x256x16_MI16x16x4x1_SN_1LDSB1_APM1_AF0EM1_AF1EM1_AMAS3_ASGT_ASLT1257_ASEM1_BL1_BS1_CLR0_DTVA0_DTVB0_ETB_EPS1_ELFLR0_EMLL0_FSSC10_FL0_GLVWA2_GLVWB1_GRCGA1_GRCGB1_GRVWn1_GSU5_GSUAMB_GLS0_IU1_K1_LBSPPA0_LBSPPB128_LPA0_LPB1_LRVW1_MIAV0_MKFGSU256_NTA0_NTB0_NTC0_NTD0_NEPBS4_NLCA3_NLCB1_ONLL1_PK0_PGR2_PLR1_PKA0_SIA3_SS1_SU0_SUM0_SUS0_SPO0_SRVW0_SSO0_SVW2_TSGRA0_TSGRB0_TT6_64_TLDS1_UMLDSA0_UMLDSB1_USFGROn1_VAW1_VSn1_VW2_VWB1_VFLRP0_WSGRA0_WSGRB0_WG16_16_1_WGM1
.p2align 8
.type Cijk_Ailk_Bljk_CB_MT96x256x16_MI16x16x4x1_SN_1LDSB1_APM1_AF0EM1_AF1EM1_AMAS3_ASGT_ASLT1257_ASEM1_BL1_BS1_CLR0_DTVA0_DTVB0_ETB_EPS1_ELFLR0_EMLL0_FSSC10_FL0_GLVWA2_GLVWB1_GRCGA1_GRCGB1_GRVWn1_GSU5_GSUAMB_GLS0_IU1_K1_LBSPPA0_LBSPPB128_LPA0_LPB1_LRVW1_MIAV0_MKFGSU256_NTA0_NTB0_NTC0_NTD0_NEPBS4_NLCA3_NLCB1_ONLL1_PK0_PGR2_PLR1_PKA0_SIA3_SS1_SU0_SUM0_SUS0_SPO0_SRVW0_SSO0_SVW2_TSGRA0_TSGRB0_TT6_64_TLDS1_UMLDSA0_UMLDSB1_USFGROn1_VAW1_VSn1_VW2_VWB1_VFLRP0_WSGRA0_WSGRB0_WG16_16_1_WGM1,@function
.section .rodata,#alloc
.p2align 6
.amdhsa_kernel Cijk_Ailk_Bljk_CB_MT96x256x16_MI16x16x4x1_SN_1LDSB1_APM1_AF0EM1_AF1EM1_AMAS3_ASGT_ASLT1257_ASEM1_BL1_BS1_CLR0_DTVA0_DTVB0_ETB_EPS1_ELFLR0_EMLL0_FSSC10_FL0_GLVWA2_GLVWB1_GRCGA1_GRCGB1_GRVWn1_GSU5_GSUAMB_GLS0_IU1_K1_LBSPPA0_LBSPPB128_LPA0_LPB1_LRVW1_MIAV0_MKFGSU256_NTA0_NTB0_NTC0_NTD0_NEPBS4_NLCA3_NLCB1_ONLL1_PK0_PGR2_PLR1_PKA0_SIA3_SS1_SU0_SUM0_SUS0_SPO0_SRVW0_SSO0_SVW2_TSGRA0_TSGRB0_TT6_64_TLDS1_UMLDSA0_UMLDSB1_USFGROn1_VAW1_VSn1_VW2_VWB1_VFLRP0_WSGRA0_WSGRB0_WG16_16_1_WGM1
  .amdhsa_user_sgpr_kernarg_segment_ptr 1
  .amdhsa_user_sgpr_kernarg_preload_offset 0
  .amdhsa_user_sgpr_kernarg_preload_length 0
  .amdhsa_user_sgpr_count 2
  .amdhsa_accum_offset 256 // accvgpr offset
  .amdhsa_next_free_vgpr 448 // vgprs
  .amdhsa_next_free_sgpr 77 // sgprs
  .amdhsa_group_segment_fixed_size 47104 // lds bytes
  .amdhsa_private_segment_fixed_size 0
  .amdhsa_system_sgpr_workgroup_id_x 1
  .amdhsa_system_sgpr_workgroup_id_y 1
  .amdhsa_system_sgpr_workgroup_id_z 1
  .amdhsa_system_vgpr_workitem_id 0
  .amdhsa_float_denorm_mode_32 3
  .amdhsa_float_denorm_mode_16_64 3
.end_amdhsa_kernel
.text

/******************************************/
/* Optimizations and Config:              */
/******************************************/
/* ThreadTile= 24 x 4 */
/* SubGroup= 4 x 64 */
/* VectorWidthA=2 */
/* VectorWidthB=1 */
/* GlobalLoadVectorWidthA=2, GlobalLoadVectorWidthB=1 */
/* DirectToLdsA=False */
/* DirectToLdsB=False */
/* UseSgprForGRO=1 */
.amdgpu_metadata
---
amdhsa.version:
  - 1
  - 1
amdhsa.target: amdgcn-amd-amdhsa--gfx942
amdhsa.kernels:
  - .name: Cijk_Ailk_Bljk_CB_MT96x256x16_MI16x16x4x1_SN_1LDSB1_APM1_AF0EM1_AF1EM1_AMAS3_ASGT_ASLT1257_ASEM1_BL1_BS1_CLR0_DTVA0_DTVB0_ETB_EPS1_ELFLR0_EMLL0_FSSC10_FL0_GLVWA2_GLVWB1_GRCGA1_GRCGB1_GRVWn1_GSU5_GSUAMB_GLS0_IU1_K1_LBSPPA0_LBSPPB128_LPA0_LPB1_LRVW1_MIAV0_MKFGSU256_NTA0_NTB0_NTC0_NTD0_NEPBS4_NLCA3_NLCB1_ONLL1_PK0_PGR2_PLR1_PKA0_SIA3_SS1_SU0_SUM0_SUS0_SPO0_SRVW0_SSO0_SVW2_TSGRA0_TSGRB0_TT6_64_TLDS1_UMLDSA0_UMLDSB1_USFGROn1_VAW1_VSn1_VW2_VWB1_VFLRP0_WSGRA0_WSGRB0_WG16_16_1_WGM1
    .symbol: 'Cijk_Ailk_Bljk_CB_MT96x256x16_MI16x16x4x1_SN_1LDSB1_APM1_AF0EM1_AF1EM1_AMAS3_ASGT_ASLT1257_ASEM1_BL1_BS1_CLR0_DTVA0_DTVB0_ETB_EPS1_ELFLR0_EMLL0_FSSC10_FL0_GLVWA2_GLVWB1_GRCGA1_GRCGB1_GRVWn1_GSU5_GSUAMB_GLS0_IU1_K1_LBSPPA0_LBSPPB128_LPA0_LPB1_LRVW1_MIAV0_MKFGSU256_NTA0_NTB0_NTC0_NTD0_NEPBS4_NLCA3_NLCB1_ONLL1_PK0_PGR2_PLR1_PKA0_SIA3_SS1_SU0_SUM0_SUS0_SPO0_SRVW0_SSO0_SVW2_TSGRA0_TSGRB0_TT6_64_TLDS1_UMLDSA0_UMLDSB1_USFGROn1_VAW1_VSn1_VW2_VWB1_VFLRP0_WSGRA0_WSGRB0_WG16_16_1_WGM1.kd'
    .language:                   OpenCL C
    .language_version:
      - 2
      - 0
    .args:
      - .name:            Tensor2dSizeA
        .size:            8
        .offset:          0
        .value_kind:      by_value
        .value_type:      u64
      - .name:            Tensor2dSizeB
        .size:            8
        .offset:          8
        .value_kind:      by_value
        .value_type:      u64
      - .name:            AddressD
        .size:            8
        .offset:          16
        .value_kind:      by_value
        .value_type:      u64
      - .name:            AddressC
        .size:            8
        .offset:          24
        .value_kind:      by_value
        .value_type:      u64
      - .name:            AddressA
        .size:            8
        .offset:          32
        .value_kind:      by_value
        .value_type:      u64
      - .name:            AddressB
        .size:            8
        .offset:          40
        .value_kind:      by_value
        .value_type:      u64
      - .name:            Alpha
        .size:            8
        .offset:          48
        .value_kind:      by_value
        .value_type:      u64
      - .name:            Beta
        .size:            8
        .offset:          56
        .value_kind:      by_value
        .value_type:      u64
      - .name:            StridesD
        .size:            8
        .offset:          64
        .value_kind:      by_value
        .value_type:      u64
      - .name:            StridesC
        .size:            8
        .offset:          72
        .value_kind:      by_value
        .value_type:      u64
      - .name:            StridesA
        .size:            8
        .offset:          80
        .value_kind:      by_value
        .value_type:      u64
      - .name:            StridesB
        .size:            8
        .offset:          88
        .value_kind:      by_value
        .value_type:      u64
      - .name:            SizesFree
        .size:            12
        .offset:          96
        .value_kind:      by_value
        .value_type:      u96
      - .name:            SizesSum
        .size:            4
        .offset:          108
        .value_kind:      by_value
        .value_type:      u32
      - .name:            NumWorkGroups0
        .size:            4
        .offset:          112
        .value_kind:      by_value
        .value_type:      u32
      - .name:            NumWorkGroups1
        .size:            4
        .offset:          116
        .value_kind:      by_value
        .value_type:      u32
    .group_segment_fixed_size:   47104
    .kernarg_segment_align:      8
    .kernarg_segment_size:       120
    .max_flat_workgroup_size:    256
    .private_segment_fixed_size: 0
    .sgpr_count:                 77
    .sgpr_spill_count:           0
    .vgpr_count:                 256
    .vgpr_spill_count:           0
    .wavefront_size:             64
...
.end_amdgpu_metadata
Cijk_Ailk_Bljk_CB_MT96x256x16_MI16x16x4x1_SN_1LDSB1_APM1_AF0EM1_AF1EM1_AMAS3_ASGT_ASLT1257_ASEM1_BL1_BS1_CLR0_DTVA0_DTVB0_ETB_EPS1_ELFLR0_EMLL0_FSSC10_FL0_GLVWA2_GLVWB1_GRCGA1_GRCGB1_GRVWn1_GSU5_GSUAMB_GLS0_IU1_K1_LBSPPA0_LBSPPB128_LPA0_LPB1_LRVW1_MIAV0_MKFGSU256_NTA0_NTB0_NTC0_NTD0_NEPBS4_NLCA3_NLCB1_ONLL1_PK0_PGR2_PLR1_PKA0_SIA3_SS1_SU0_SUM0_SUS0_SPO0_SRVW0_SSO0_SVW2_TSGRA0_TSGRB0_TT6_64_TLDS1_UMLDSA0_UMLDSB1_USFGROn1_VAW1_VSn1_VW2_VWB1_VFLRP0_WSGRA0_WSGRB0_WG16_16_1_WGM1:

/******************************************/
/* Asm syntax workarounds                 */
/******************************************/
.macro _v_add_co_u32 dst:req, cc:req, src0:req, src1:req, dpp=
   v_add_co_u32 \dst, \cc, \src0, \src1 \dpp
.endm

.macro _v_add_u32 dst:req, src0:req, src1:req, dpp=
   v_add_u32 \dst, \src0, \src1 \dpp
.endm

.macro _v_add_i32 dst:req, src0:req, src1:req, dpp=
   v_add_i32 \dst, \src0, \src1 \dpp
.endm

.macro _v_addc_co_u32 dst:req, ccOut:req, src0:req, ccIn:req, src1:req, dpp=
   v_addc_co_u32 \dst, \ccOut, \src0, \ccIn, \src1 \dpp
.endm

.macro _v_sub_co_u32 dst:req, cc:req, src0:req, src1:req, dpp=
   v_sub_co_u32 \dst, \cc, \src0, \src1 \dpp
.endm

.macro _v_sub_u32 dst:req, src0:req, src1:req, dpp=
   v_sub_u32 \dst, \src0, \src1 \dpp
.endm

.macro _v_sub_i32 dst:req, src0:req, src1:req, dpp=
   v_sub_i32 \dst, \src0, \src1 \dpp
.endm

.macro _v_add_lshl_u32 dst:req, src0:req, src1:req, shiftCnt:req
    v_add_lshl_u32 \dst, \src0, \src1, \shiftCnt
.endm

.macro _v_lshl_add_u32 dst:req, src0:req, src1:req, shiftCnt:req
    v_lshl_add_u32 \dst, \src0, \src1, \shiftCnt
.endm

.macro _v_lshl_or_b32 dst:req, src0:req, shiftCnt:req, src1:req
    v_lshl_or_b32 \dst, \src0, \shiftCnt, \src1
.endm

.macro _v_dot2acc_f32_f16 dst, src0, src1
v_dot2c_f32_f16 \dst, \src0, \src1
.endm

.macro _v_cmpx_lt_i16 dst, src0, src1=
   v_cmpx_lt_i16 \dst, \src0, \src1 
.endm

.macro _v_cmpx_lt_i32 dst, src0, src1=
   v_cmpx_lt_i32 \dst, \src0, \src1 
.endm

.macro _v_cmpx_lt_i64 dst, src0, src1=
   v_cmpx_lt_i64 \dst, \src0, \src1 
.endm

.macro _v_cmpx_lt_u16 dst, src0, src1=
   v_cmpx_lt_u16 \dst, \src0, \src1 
.endm

.macro _v_cmpx_lt_u32 dst, src0, src1=
   v_cmpx_lt_u32 \dst, \src0, \src1 
.endm

.macro _v_cmpx_lt_u64 dst, src0, src1=
   v_cmpx_lt_u64 \dst, \src0, \src1 
.endm

.macro _v_cmpx_eq_i16 dst, src0, src1=
   v_cmpx_eq_i16 \dst, \src0, \src1 
.endm

.macro _v_cmpx_eq_i32 dst, src0, src1=
   v_cmpx_eq_i32 \dst, \src0, \src1 
.endm

.macro _v_cmpx_eq_i64 dst, src0, src1=
   v_cmpx_eq_i64 \dst, \src0, \src1 
.endm

.macro _v_cmpx_eq_u16 dst, src0, src1=
   v_cmpx_eq_u16 \dst, \src0, \src1 
.endm

.macro _v_cmpx_eq_u32 dst, src0, src1=
   v_cmpx_eq_u32 \dst, \src0, \src1 
.endm

.macro _v_cmpx_eq_u64 dst, src0, src1=
   v_cmpx_eq_u64 \dst, \src0, \src1 
.endm

.macro _v_cmpx_le_i16 dst, src0, src1=
   v_cmpx_le_i16 \dst, \src0, \src1 
.endm

.macro _v_cmpx_le_i32 dst, src0, src1=
   v_cmpx_le_i32 \dst, \src0, \src1 
.endm

.macro _v_cmpx_le_i64 dst, src0, src1=
   v_cmpx_le_i64 \dst, \src0, \src1 
.endm

.macro _v_cmpx_le_u16 dst, src0, src1=
   v_cmpx_le_u16 \dst, \src0, \src1 
.endm

.macro _v_cmpx_le_u32 dst, src0, src1=
   v_cmpx_le_u32 \dst, \src0, \src1 
.endm

.macro _v_cmpx_le_u64 dst, src0, src1=
   v_cmpx_le_u64 \dst, \src0, \src1 
.endm

.macro _v_cmpx_gt_i16 dst, src0, src1=
   v_cmpx_gt_i16 \dst, \src0, \src1 
.endm

.macro _v_cmpx_gt_i32 dst, src0, src1=
   v_cmpx_gt_i32 \dst, \src0, \src1 
.endm

.macro _v_cmpx_gt_i64 dst, src0, src1=
   v_cmpx_gt_i64 \dst, \src0, \src1 
.endm

.macro _v_cmpx_gt_u16 dst, src0, src1=
   v_cmpx_gt_u16 \dst, \src0, \src1 
.endm

.macro _v_cmpx_gt_u32 dst, src0, src1=
   v_cmpx_gt_u32 \dst, \src0, \src1 
.endm

.macro _v_cmpx_gt_u64 dst, src0, src1=
   v_cmpx_gt_u64 \dst, \src0, \src1 
.endm

.macro _v_cmpx_ne_i16 dst, src0, src1=
   v_cmpx_ne_i16 \dst, \src0, \src1 
.endm

.macro _v_cmpx_ne_i32 dst, src0, src1=
   v_cmpx_ne_i32 \dst, \src0, \src1 
.endm

.macro _v_cmpx_ne_i64 dst, src0, src1=
   v_cmpx_ne_i64 \dst, \src0, \src1 
.endm

.macro _v_cmpx_ne_u16 dst, src0, src1=
   v_cmpx_ne_u16 \dst, \src0, \src1 
.endm

.macro _v_cmpx_ne_u32 dst, src0, src1=
   v_cmpx_ne_u32 \dst, \src0, \src1 
.endm

.macro _v_cmpx_ne_u64 dst, src0, src1=
   v_cmpx_ne_u64 \dst, \src0, \src1 
.endm

.macro _v_cmpx_lg_i16 dst, src0, src1=
   v_cmpx_lg_i16 \dst, \src0, \src1 
.endm

.macro _v_cmpx_lg_i32 dst, src0, src1=
   v_cmpx_lg_i32 \dst, \src0, \src1 
.endm

.macro _v_cmpx_lg_i64 dst, src0, src1=
   v_cmpx_lg_i64 \dst, \src0, \src1 
.endm

.macro _v_cmpx_lg_u16 dst, src0, src1=
   v_cmpx_lg_u16 \dst, \src0, \src1 
.endm

.macro _v_cmpx_lg_u32 dst, src0, src1=
   v_cmpx_lg_u32 \dst, \src0, \src1 
.endm

.macro _v_cmpx_lg_u64 dst, src0, src1=
   v_cmpx_lg_u64 \dst, \src0, \src1 
.endm

.macro _v_cmpx_ge_i16 dst, src0, src1=
   v_cmpx_ge_i16 \dst, \src0, \src1 
.endm

.macro _v_cmpx_ge_i32 dst, src0, src1=
   v_cmpx_ge_i32 \dst, \src0, \src1 
.endm

.macro _v_cmpx_ge_i64 dst, src0, src1=
   v_cmpx_ge_i64 \dst, \src0, \src1 
.endm

.macro _v_cmpx_ge_u16 dst, src0, src1=
   v_cmpx_ge_u16 \dst, \src0, \src1 
.endm

.macro _v_cmpx_ge_u32 dst, src0, src1=
   v_cmpx_ge_u32 \dst, \src0, \src1 
.endm

.macro _v_cmpx_ge_u64 dst, src0, src1=
   v_cmpx_ge_u64 \dst, \src0, \src1 
.endm

.macro _v_cmpx_o_i16 dst, src0, src1=
   v_cmpx_o_i16 \dst, \src0, \src1 
.endm

.macro _v_cmpx_o_i32 dst, src0, src1=
   v_cmpx_o_i32 \dst, \src0, \src1 
.endm

.macro _v_cmpx_o_i64 dst, src0, src1=
   v_cmpx_o_i64 \dst, \src0, \src1 
.endm

.macro _v_cmpx_o_u16 dst, src0, src1=
   v_cmpx_o_u16 \dst, \src0, \src1 
.endm

.macro _v_cmpx_o_u32 dst, src0, src1=
   v_cmpx_o_u32 \dst, \src0, \src1 
.endm

.macro _v_cmpx_o_u64 dst, src0, src1=
   v_cmpx_o_u64 \dst, \src0, \src1 
.endm

.macro _v_cmpx_u_i16 dst, src0, src1=
   v_cmpx_u_i16 \dst, \src0, \src1 
.endm

.macro _v_cmpx_u_i32 dst, src0, src1=
   v_cmpx_u_i32 \dst, \src0, \src1 
.endm

.macro _v_cmpx_u_i64 dst, src0, src1=
   v_cmpx_u_i64 \dst, \src0, \src1 
.endm

.macro _v_cmpx_u_u16 dst, src0, src1=
   v_cmpx_u_u16 \dst, \src0, \src1 
.endm

.macro _v_cmpx_u_u32 dst, src0, src1=
   v_cmpx_u_u32 \dst, \src0, \src1 
.endm

.macro _v_cmpx_u_u64 dst, src0, src1=
   v_cmpx_u_u64 \dst, \src0, \src1 
.endm
.macro _v_mac_f32 c:req, a:req, b:req
    v_fmac_f32 \c, \a, \b
.endmacro

/* scale global load macros */
.macro _s_load_b32 dst base offset
    s_load_dword \dst \base \offset
.endm

.macro _s_load_b64 dst base offset
    s_load_dwordx2 \dst \base \offset
.endm

.macro _s_load_b128 dst base offset
    s_load_dwordx4 \dst \base \offset
.endm

.macro _s_load_b256 dst base offset
    s_load_dwordx8 \dst \base \offset
.endm

.macro _s_load_b512 dst base offset
    s_load_dwordx16 \dst \base \offset
.endm


/* ds operation macros */
.macro _ds_load_u8 dst src offset
    ds_read_u8 \dst \src \offset
.endm

.macro _ds_load_u8_d16_hi dst src offset
    ds_read_u8_d16_hi \dst \src \offset
.endm

.macro _ds_load_u16 dst src offset
    ds_read_u16 \dst \src \offset
.endm

.macro _ds_load_u16_d16_hi dst src offset
    ds_read_u16_d16_hi \dst \src \offset
.endm

.macro _ds_load_b32 dst src offset
    ds_read_b32 \dst \src \offset
.endm

.macro _ds_load_b64 dst src offset
    ds_read_b64 \dst \src \offset
.endm

.macro _ds_load_b128 dst src offset
    ds_read_b128 \dst \src \offset
.endm

.macro _ds_store_b8 dst src offset
    ds_write_b8 \dst \src \offset
.endm

.macro _ds_store_b8_d16_hi dst src offset
    ds_write_b8_d16_hi \dst \src \offset
.endm

.macro _ds_store_b16 dst src offset
    ds_write_b16 \dst \src \offset
.endm

.macro _ds_store_b16_d16_hi dst src offset
    ds_write_b16_d16_hi \dst \src \offset
.endm

.macro _ds_store_b32 dst src offset
    ds_write_b32 \dst \src \offset
.endm

.macro _ds_store_b64 dst src offset
    ds_write_b64 \dst \src \offset
.endm

.macro _ds_store_b128 dst src offset
    ds_write_b128 \dst \src \offset
.endm

.macro _ds_load2_b32 dst src offset1 offset2
    ds_read2_b32 \dst \src \offset1 \offset2
.endm

.macro _ds_load2_b64 dst src offset1 offset2
    ds_read2_b64 \dst \src \offset1 \offset2
.endm

.macro _ds_store2_b32 dst src offset1 offset2
    ds_write2_b32 \dst \src \offset1 \offset2
.endm

.macro _ds_store2_b64 dst src offset1 offset2
    ds_write2_b64 \dst \src \offset1 \offset2
.endm


/* buffer memory operation macros */
.macro _buffer_load_b32 dst voffset base soffset offen ioffset md0 md1 md2
    buffer_load_dword \dst \voffset \base \soffset \offen \ioffset \md0 \md1 \md2
.endm

.macro _buffer_load_b64 dst voffset base soffset offen ioffset md0 md1 md2
    buffer_load_dwordx2 \dst \voffset \base \soffset \offen \ioffset \md0 \md1 \md2
.endm

.macro _buffer_load_b96 dst voffset base soffset offen ioffset md0 md1 md2
    buffer_load_dwordx3 \dst \voffset \base \soffset \offen \ioffset \md0 \md1 \md2
.endm

.macro _buffer_load_b128 dst voffset base soffset offen ioffset md0 md1 md2
    buffer_load_dwordx4 \dst \voffset \base \soffset \offen \ioffset \md0 \md1 \md2
.endm

.macro _buffer_load_d16_b16 dst voffset base soffset offen ioffset md0 md1 md2
    buffer_load_short_d16 \dst \voffset \base \soffset \offen \ioffset \md0 \md1 \md2
.endm

.macro _buffer_load_d16_hi_b16 dst voffset base soffset offen ioffset md0 md1 md2
    buffer_load_short_d16_hi \dst \voffset \base \soffset \offen \ioffset \md0 \md1 \md2
.endm

.macro _buffer_load_d16_u8 dst voffset base soffset offen ioffset md0 md1 md2
    buffer_load_ubyte_d16 \dst \voffset \base \soffset \offen \ioffset \md0 \md1 \md2
.endm

.macro _buffer_load_d16_hi_u8 dst voffset base soffset offen ioffset md0 md1 md2
    buffer_load_ubyte_d16_hi \dst \voffset \base \soffset \offen \ioffset \md0 \md1 \md2
.endm

.macro _buffer_load_u16 dst voffset base soffset offen ioffset md0 md1 md2
    buffer_load_ushort \dst \voffset \base \soffset \offen \ioffset \md0 \md1 \md2
.endm

.macro _buffer_load_b32_dtl voffset base soffset offen ioffset md0 md1 md2
    buffer_load_dword \voffset \base \soffset \offen \ioffset \md0 \md1 \md2
.endm

.macro _buffer_load_b64_dtl voffset base soffset offen ioffset md0 md1 md2
    buffer_load_dwordx2 \voffset \base \soffset \offen \ioffset \md0 \md1 \md2
.endm

.macro _buffer_load_b128_dtl voffset base soffset offen ioffset md0 md1 md2
    buffer_load_dwordx4 \voffset \base \soffset \offen \ioffset \md0 \md1 \md2
.endm

.macro _buffer_load_u16_dtl voffset base soffset offen ioffset md0 md1 md2
    buffer_load_ushort \voffset \base \soffset \offen \ioffset \md0 \md1 \md2
.endm

.macro _buffer_store_b32 src voffset base soffset offen ioffset md0 md1 md2
    buffer_store_dword \src \voffset \base \soffset \offen \ioffset \md0 \md1 \md2
.endm

.macro _buffer_store_b64 src voffset base soffset offen ioffset md0 md1 md2
    buffer_store_dwordx2 \src \voffset \base \soffset \offen \ioffset \md0 \md1 \md2
.endm

.macro _buffer_store_b96 src voffset base soffset offen ioffset md0 md1 md2
    buffer_store_dwordx3 \src \voffset \base \soffset \offen \ioffset \md0 \md1 \md2
.endm

.macro _buffer_store_b128 src voffset base soffset offen ioffset md0 md1 md2
    buffer_store_dwordx4 \src \voffset \base \soffset \offen \ioffset \md0 \md1 \md2
.endm

.macro _buffer_store_b16 src voffset base soffset offen ioffset md0 md1 md2
    buffer_store_short \src \voffset \base \soffset \offen \ioffset \md0 \md1 \md2
.endm

.macro _buffer_store_d16_hi_b16 src voffset base soffset offen ioffset md0 md1 md2
    buffer_store_short_d16_hi \src \voffset \base \soffset \offen \ioffset \md0 \md1 \md2
.endm

.macro _buffer_store_b8 src voffset base soffset offen ioffset md0 md1 md2
    buffer_store_byte \src \voffset \base \soffset \offen \ioffset \md0 \md1 \md2
.endm

.macro _buffer_store_d16_hi_b8 src voffset base soffset offen ioffset md0 md1 md2
    buffer_store_byte_d16_hi \src \voffset \base \soffset \offen \ioffset \md0 \md1 \md2
.endm

.macro _buffer_atomic_cmpswap_b32 dst voffset base soffset offen ioffset md0 md1 md2
    buffer_atomic_cmpswap \dst \voffset \base \soffset \offen \ioffset \md0 \md1 \md2
.endm

.macro _buffer_atomic_cmpswap_b64 dst voffset base soffset offen ioffset md0 md1 md2
    buffer_atomic_cmpswap_x2 \dst \voffset \base \soffset \offen \ioffset \md0 \md1 \md2
.endm


/* buffer memory operation macros */
.macro _global_load_b32 dst base src ioffset md0 md1 md2
    global_load_dword \dst \base \src \ioffset \md0 \md1 \md2
.endm

.macro _global_load_b64 dst base src ioffset md0 md1 md2
    global_load_dwordx2 \dst \base \src \ioffset \md0 \md1 \md2
.endm

.macro _global_load_b96 dst base src ioffset md0 md1 md2
    global_load_dwordx3 \dst \base \src \ioffset \md0 \md1 \md2
.endm

.macro _global_load_b128 dst base src ioffset md0 md1 md2
    global_load_dwordx4 \dst \base \src \ioffset \md0 \md1 \md2
.endm

.macro _global_load_d16_b16 dst base src ioffset md0 md1 md2
    global_load_short_d16 \dst \base \src \ioffset \md0 \md1 \md2
.endm

.macro _global_load_d16_hi_b16 dst base src ioffset md0 md1 md2
    global_load_short_d16_hi \dst \base \src \ioffset \md0 \md1 \md2
.endm

.macro _global_load_d16_u8 dst base src ioffset md0 md1 md2
    global_load_ubyte_d16 \dst \base \src \ioffset \md0 \md1 \md2
.endm

.macro _global_load_d16_hi_u8 dst base src ioffset md0 md1 md2
    global_load_ubyte_d16_hi \dst \base \src \ioffset \md0 \md1 \md2
.endm

.macro _global_load_u16 dst base src ioffset md0 md1 md2
    global_load_ushort \dst \base \src \ioffset \md0 \md1 \md2
.endm

.macro _global_store_b32 base src src2 md0 md1 md2
    global_store_dword \base \src \src2 \md0 \md1 \md2
.endm

.macro _global_store_b64 base src src2 md0 md1 md2
    global_store_dwordx2 \base \src \src2 \md0 \md1 \md2
.endm

.macro _global_store_b96 base src src2 md0 md1 md2
    global_store_dwordx3 \base \src \src2 \md0 \md1 \md2
.endm

.macro _global_store_b128 base src src2 md0 md1 md2
    global_store_dwordx4 \base \src \src2 \md0 \md1 \md2
.endm

.macro _global_store_d16_b16 base src src2 md0 md1 md2
    global_store_short \base \src \src2 \md0 \md1 \md2
.endm

.macro _global_store_d16_hi_b16 base src src2 md0 md1 md2
    global_store_short_d16_hi \base \src \src2 \md0 \md1 \md2
.endm

.macro _global_store_d16_u8 base src src2 md0 md1 md2
    global_store_ubyte_d16 \base \src \src2 \md0 \md1 \md2
.endm

.macro _global_store_d16_hi_u8 base src src2 md0 md1 md2
    global_store_ubyte_d16_hi \base \src \src2 \md0 \md1 \md2
.endm

.macro _global_store_u16 base src src2 md0 md1 md2
    global_store_ushort \base \src \src2 \md0 \md1 \md2
.endm

.macro _global_atomic_cmpswap_b32 tmp base data src ioffset md
    global_atomic_cmpswap \tmp \base \data \src \ioffset \md
.endm

.macro _global_atomic_cmpswap_b64 tmp base data src ioffset md
    global_atomic_cmpswap_x2 \tmp \base \data \src \ioffset \md
.endm


/******************************************/
/* Magic div and mod functions            */
/******************************************/
.macro V_MAGIC_DIV dstIdx:req, dividend:req, magicNumber:req, magicShift:req, magicA:req
    v_mul_hi_u32 v[\dstIdx+1], \dividend, \magicNumber
    v_mul_lo_u32 v[\dstIdx+0], \dividend, \magicA
    _v_add_u32 v[\dstIdx+0], v[\dstIdx+0], v[\dstIdx+1]
    v_lshrrev_b32 v[\dstIdx+0], \magicShift, v[\dstIdx+0]
.endm

/******************************************/
/* VGPR Assignments                       */
/******************************************/
/* ValuC range: [0-0), serializedStore enabled */
.set vgprValuC, 0
/* ValuA/B   Xn=PLR buffer idx,  In=InnerUnroll idx */
.set vgprValuA_X0_I0, 0
.set vgprValuA_X1_I0, 12
.set vgprG2LA, 44
.set vgprValuB_X0_I0, 24
.set vgprValuB_X1_I0, 32
.set vgprG2LB, 56
.set vgprLocalWriteAddrA, 40
.set vgprLocalWriteAddrB, 41
.set vgprGlobalReadOffsetA, 42
.set vgprGlobalReadOffsetB, 43
.set vgprLocalReadAddrA, 88
.set vgprLocalReadAddrB, 89
.set vgprSerial, 90
/* Num VGPR=256 */
/* Num AccVGPR=192 */

/******************************************/
/* SGPR Assignments                       */
/******************************************/
.set sgprKernArgAddress, 0 // (2)
.set sgprWorkGroup0, 2 // (1)
.set sgprWorkGroup1, 3 // (1)
.set sgprWorkGroup2, 4 // (1)
.set sgprGSUSumIdx, 5 // (2)
.set sgprLoopCounterL, 7 // (1)
.set sgprOrigLoopCounter, 8 // (1)
.set sgprSrdA, 12 // (4)
.set sgprSrdB, 16 // (4)
.set sgprSrdD, 20 // (4)
.set sgprSrdC, 24 // (4)
.set sgprTensor2dSizeA, 28 // (2)
.set sgprTensor2dSizeB, 30 // (2)
.set sgprAddressD, 32 // (2)
.set sgprAddressC, 34 // (2)
.set sgprAddressA, 36 // (2)
.set sgprAddressB, 38 // (2)
.set sgprAlpha, 40 // (2)
.set sgprBeta, 42 // (2)
.set sgprStridesD, 44 // (2)
.set sgprStridesC, 46 // (2)
.set sgprStridesA, 48 // (2)
.set sgprStridesB, 50 // (2)
.set sgprSizesFree, 52 // (3)
.set sgprSizesSum, 55 // (1)
.set sgprNumWorkGroups0, 56 // (1)
.set sgprNumWorkGroups1, 57 // (1)
.set sgprShadowLimitA, 0 // (2)
.set sgprShadowLimitB, 32 // (2)
.set sgprGlobalReadIncsA, 9 // (1)
.set sgprGlobalReadIncsB, 34 // (1)
.set sgprScalarGlobalReadOffsetA, 35 // (2)
.set sgprScalarGlobalReadOffsetB, 58 // (15)
/* max SGPR=77 */

/* Size Assignments */
.set sgprSizeI, sgprSizesFree+0
.set sgprSizeJ, sgprSizesFree+1
.set sgprSizeK, sgprSizesFree+2
.set sgprSizeL, sgprSizesSum+0

/* Stride Assignments */
.set constStrideD0I, 1
.set sgprStrideD1J, sgprStridesD+0
.set sgprStrideDK, sgprStridesD+1
.set constStrideC0I, 1
.set sgprStrideC1J, sgprStridesC+0
.set sgprStrideCK, sgprStridesC+1
.set constStrideA0I, 1
.set sgprStrideAL, sgprStridesA+0
.set sgprStrideAK, sgprStridesA+1
.set constStrideBL, 1
.set sgprStrideB1J, sgprStridesB+0
.set sgprStrideBK, sgprStridesB+1

.set MT0, 96
.set MT1, 256
.set DepthU, 16
.set GSU, 5
.set BpeA, 8
.set BpeALog2, 3
.set BpeB, 8
.set BpeBLog2, 3
/* Number of elements to shift-left SRD */
.set SrdShiftLeftA, 2
.set SrdShiftLeftB, 1
/* 2GB limit - set offsets to -1 to exceed this and clamp */
.set BufferLimitA, 0xffffffff
.set BufferLimitB, 0xffffffff
.set BufferOOB, 0xfffff000

/******************************************/
/* Bits 127:96 of SRD.                    */
/* hex: 0x00020000                        */
/* dst_sel_x (3b): 0                      */
/* dst_sel_y (3b): 0                      */
/* dst_sel_z (3b): 0                      */
/* dst_sel_w (3b): 0                      */
/* num_format (3b): 0                     */
/* data_format (4b): 4                    */
/* user_vm_enable (1b): 0                 */
/* user_vm_mode (1b): 0                   */
/* index_stride (2b): 0                   */
/* add_tid_enable (1b): 0                 */
/* _unusedA (3b): 0                       */
/* nv (1b): 0                             */
/* _unusedB (2b): 0                       */
/* type (2b): 0                           */
/******************************************/
.set Srd127_96, 0x00020000

/* Global Offset A */
.macro GLOBAL_OFFSET_A vgprAddr:req vgprOffset0I:req vgprOffsetL:req vgprTmp:req
v_mul_lo_u32 v[\vgprTmp+0], s[sgprStrideAL], v[\vgprOffsetL] // mul d1 lower
_v_add_co_u32 v[\vgprAddr+0], vcc, v[\vgprOffset0I], v[\vgprTmp+0] // accumulate K lower
_v_add_u32 v[\vgprAddr+0], 0x2, v[\vgprAddr+0]     // add prepad for pointer shift
v_lshlrev_b32 v[\vgprAddr+0], 0x3, v[\vgprAddr+0]  // offset *= bytes/element
.endm

/* Global Offset B */
.macro GLOBAL_OFFSET_B vgprAddr:req vgprOffsetL:req vgprOffset1J:req vgprTmp:req
v_mul_lo_u32 v[\vgprTmp+0], s[sgprStrideB1J], v[\vgprOffset1J] // mul d1 lower
_v_add_co_u32 v[\vgprAddr+0], vcc, v[\vgprOffsetL], v[\vgprTmp+0] // accumulate K lower
_v_add_u32 v[\vgprAddr+0], 0x1, v[\vgprAddr+0]     // add prepad for pointer shift
v_lshlrev_b32 v[\vgprAddr+0], 0x3, v[\vgprAddr+0]  // offset *= bytes/element
.endm

/******************************************/
/* Dynamic Scalar Divide: vQuotient=vDividend/vDivisor; vRemainder=vDividend%vDivisor; */
/******************************************/
.macro DYNAMIC_VECTOR_DIVIDE vQuotient vRemainder vDividend vDivisor vTmp0 vTmp1 sTmp
v_cvt_f32_u32 v[\vQuotient], v[\vDivisor]          // 
v_rcp_f32 v[\vQuotient], v[\vQuotient]             // 
v_mul_f32 v[\vQuotient], 0x4f800000, v[\vQuotient] // 
v_cvt_u32_f32 v[\vQuotient], v[\vQuotient]         // 
v_mul_lo_u32 v[\vRemainder], v[\vDivisor], v[\vQuotient] // 
v_mul_hi_u32 v[\vTmp0], v[\vDivisor], v[\vQuotient] // 
_v_sub_co_u32 v[\vTmp1], vcc, 0x0, v[\vRemainder]  // 
v_cmp_ne_i32 s[\sTmp:\sTmp+1], 0x0, v[\vTmp0]      // 
v_cndmask_b32 v[\vRemainder], v[\vTmp1], v[\vRemainder], s[\sTmp:\sTmp+1] // 
v_mul_hi_u32 v[\vRemainder], v[\vRemainder], v[\vQuotient] // 
_v_sub_co_u32 v[\vTmp0], vcc, v[\vQuotient], v[\vRemainder] // 
_v_add_co_u32 v[\vQuotient], vcc, v[\vQuotient], v[\vRemainder] // 
v_cndmask_b32 v[\vQuotient], v[\vQuotient], v[\vTmp0], s[\sTmp:\sTmp+1] // 
v_mul_hi_u32 v[\vQuotient], v[\vQuotient], v[\vDividend] // 
v_mul_lo_u32 v[\vRemainder], v[\vQuotient], v[\vDivisor] // 
_v_sub_co_u32 v[\vTmp0], vcc, v[\vDividend], v[\vRemainder] // 
v_cmp_ge_u32 s[\sTmp:\sTmp+1], v[\vDividend], v[\vRemainder] // 
_v_add_co_u32 v[\vRemainder], vcc, 0x1, v[\vQuotient] // 
_v_add_co_u32 v[\vTmp1], vcc, -1, v[\vQuotient]    // 
v_cmp_le_u32 vcc, v[\vDivisor], v[\vTmp0]          // 
s_and_b64 vcc, s[\sTmp:\sTmp+1], vcc               // 
v_cndmask_b32 v[\vQuotient], v[\vQuotient], v[\vRemainder], vcc // 
v_cndmask_b32 v[\vQuotient], v[\vTmp1], v[\vQuotient], s[\sTmp:\sTmp+1] // 
v_cmp_ne_i32 vcc, 0x0, v[\vDivisor]                // 
v_cndmask_b32 v[\vQuotient], -1, v[\vQuotient], vcc // final result
v_mul_lo_u32 v[\vRemainder], v[\vQuotient], v[\vDivisor] // 
_v_sub_co_u32 v[\vRemainder], vcc, v[\vDividend], v[\vRemainder] // final result
.endm


	;; [unrolled: 1-line block ×3, first 2 shown]
/******************************************/
/* Allocate Resources                     */
/******************************************/

Cijk_Ailk_Bljk_CB_MT96x256x16_MI16x16x4x1_SN_1LDSB1_APM1_AF0EM1_AF1EM1_AMAS3_ASGT_ASLT1257_ASEM1_BL1_BS1_CLR0_DTVA0_DTVB0_ETB_EPS1_ELFLR0_EMLL0_FSSC10_FL0_GLVWA2_GLVWB1_GRCGA1_GRCGB1_GRVWn1_GSU5_GSUAMB_GLS0_IU1_K1_LBSPPA0_LBSPPB128_LPA0_LPB1_LRVW1_MIAV0_MKFGSU256_NTA0_NTB0_NTC0_NTD0_NEPBS4_NLCA3_NLCB1_ONLL1_PK0_PGR2_PLR1_PKA0_SIA3_SS1_SU0_SUM0_SUS0_SPO0_SRVW0_SSO0_SVW2_TSGRA0_TSGRB0_TT6_64_TLDS1_UMLDSA0_UMLDSB1_USFGROn1_VAW1_VSn1_VW2_VWB1_VFLRP0_WSGRA0_WSGRB0_WG16_16_1_WGM1_preloaded: // Kernel start when preloading

/* Load Kernel Args */
_s_load_b512 s[28:43], s[sgprKernArgAddress:sgprKernArgAddress+1], 0x0 // 
_s_load_b256 s[44:51], s[sgprKernArgAddress:sgprKernArgAddress+1], 0x40 // 
_s_load_b128 s[52:55], s[sgprKernArgAddress:sgprKernArgAddress+1], 0x60 // 
_s_load_b64 s[56:57], s[sgprKernArgAddress:sgprKernArgAddress+1], 0x70 // 
s_mov_b32 m0, 0xb800                               // LDS clamp at 47104 bytes
v_mov_b32 v[vgprSerial], v0                        // thread serial id

/******************************************/
/* Local Read Addresses                   */
/******************************************/


/* local read addresses: tile assignments a/b */

/*lr0I*/
v_and_b32 v1, 63, v[vgprSerial]                    // 0. thread id in wave: wtid = tid % wavelength(64)
v_and_b32 v0, 15, v1                               // 1. N offset: nIdx = wtid % MI_N(16)
                                                   // 1. N offset: nOffset = nIdx * nStride(1) (multiplier is 1, do nothing)
                                                   // 2. block offset: bnIdx = bnIdx % num1DBlocks(1) is 0. do nothing
v_lshlrev_b32 v0, 0x1, v0                          // 4. apply VectorWidth: bnOffset = bnOffset * vw(2)
v_lshrrev_b32 v1, 4, v1                            // 5. K offset: kIdx = wtid / (MIN(16) * MIBB(1))
s_mov_b32 s9, 0x60                                 // 5. K offset: lrKOffset = kIdx * mStride(96)
v_mul_lo_u32 v1, s9, v1                            // 5. K offset: lrKOffset = kIdx * mStride(96)
_v_add_u32 v0, v1, v0                              // 6. offset in wave: lrOffset = bnOffset + lrKOffset
/*lr1J*/
v_and_b32 v2, 63, v[vgprSerial]                    // 0. thread id in wave: wtid = tid % wavelength(64)
v_and_b32 v1, 15, v2                               // 1. N offset: nIdx = wtid % MI_N(16)
v_lshlrev_b32 v1, 0x4, v1                          // 1. N offset: nOffset = nIdx * nStride(16)
                                                   // 2. block offset: bnIdx = bnIdx % num1DBlocks(1) is 0. do nothing
                                                   // 4. apply VectorWidth: bnOffset = bnOffset * vw(1) (multiplier is 1, do nothing)
v_lshrrev_b32 v2, 4, v2                            // 5. K offset: kIdx = wtid / (MIN(16) * MIBB(1))
                                                   // 5. K offset: lrKOffset = kIdx * mStride(1) (multiplier is 1, do nothing)
_v_add_u32 v1, v2, v1                              // 6. offset in wave: lrOffset = bnOffset + lrKOffset
v_lshrrev_b32 v3, 6, v[vgprSerial]                 // 7. wave offset in N dimen: wtid = tid / dividedForWaveId(64)
v_and_b32 v2, 3, v3                                // 7. wave offset in M dimen: wtid0 = wtid / num1DWaves(4)
v_lshlrev_b32 v2, 0x8, v2                          // 7. wave offset in M dimen: wOffset = wtid0 * W0Stride(256)
_v_add_u32 v1, v2, v1                              // 8. final local read offset: flrOffset = lrOffset + WOffset


/* local read addresses: final offsets a */

v_lshlrev_b32 v[vgprLocalReadAddrA], 0x3, v0       // Final Offset: offset = (lro0)*bpe


/* local read addresses: final offsets b */

v_lshlrev_b32 v[vgprLocalReadAddrB], 0x3, v1       // Final Offset: offset = (lro1)*bpe
v_lshrrev_b32 v0, 7, v[vgprLocalReadAddrB]         // Final Offset: padding 1 per block 128
v_lshlrev_b32 v0, 0x3, v0                          // Final Offset: padding 1 per block 128
_v_add_u32 v[vgprLocalReadAddrB], v0, v[vgprLocalReadAddrB] // Final Offset: add padding 1 per block 128


/* local read addresses: declare addresses a */

/* N/A */


/* local read addresses: declare addresses b */

_v_add_co_u32 v[vgprLocalReadAddrB+0], vcc, 0x3000, v[vgprLocalReadAddrB+0] //  += LdsOffsetB (lower)


/* global read addresses: tile offset assignment a */

/* LVCA = 16 */
/* v0 = (local)groA-tile = serial%LVCA (note (wgA*MTA) will be added to SRD) */
/* v1 = groA-unroll = serial/LVCA */
v_lshrrev_b32 v1, 4, v[vgprSerial]                 // v1 = v[vgprSerial] / 16
v_and_b32 v0, 15, v[vgprSerial]                    // v0 = v[vgprSerial] % 16
/* gro-tile *= glvw */
v_lshlrev_b32 v0, 0x1, v0                          // v0 = v0 * 2
v_mov_b32 v2, v1                                   // copy for GlobalSplitU


/* global read addresses: tile offset assignment b */

/* LVCB = 16 */
/* v3 = (local)groB-tile = serial/LVCB (note (wgB*MTB) will be added to SRD) */
/* v4 = groB-unroll = serial%LVCB */
v_lshrrev_b32 v3, 4, v[vgprSerial]                 // v3 = v[vgprSerial] / 16
v_and_b32 v4, 15, v[vgprSerial]                    // v4 = v[vgprSerial] % 16
/* gro-unroll *= glvw */
                                                   // v4 = v4 * 1 (multiplier is 1, do nothing)
v_mov_b32 v5, v4                                   // copy for GlobalSplitU


/******************************************/
/* Local Write Addresses                  */
/******************************************/

/* lwaTileAssignmentA = v0 */

/* lwaTileAssignmentB = v3 */

/* lwaUnrollAssignmentA = v2 */

/* lwaUnrollAssignmentB = v5 */


/* local write addresses: first offset a */

v_mul_u32_u24 v[vgprLocalWriteAddrA], 0x60, v2     // lwAL**(MTA + PAD)
_v_add_lshl_u32 v[vgprLocalWriteAddrA], v0, v[vgprLocalWriteAddrA], 0x3 // lwFOA = (lwAA + lwAL*(MT0I+PAD))*bpe


/* local write addresses: first offset b */

v_mul_u32_u24 v[vgprLocalWriteAddrB], 0x10, v3     // lwBL**(DepthU_Compute + PAD)
_v_add_lshl_u32 v[vgprLocalWriteAddrB], v5, v[vgprLocalWriteAddrB], 0x3 // lwFOB = (lwBB + lwBL*(DepthU+PAD))*bpe
v_lshrrev_b32 v6, 7, v[vgprLocalWriteAddrB]        // padding 1 per block 128
v_lshlrev_b32 v6, 0x3, v6                          // padding 1 per block 128
_v_add_u32 v[vgprLocalWriteAddrB], v6, v[vgprLocalWriteAddrB] // add padding 1 per block 128
_v_add_co_u32 v[vgprLocalWriteAddrB], vcc, 0x3000, v[vgprLocalWriteAddrB] // lwFOB = lwB1J + lwBL*MT1J + LDS_OFFSET_B=1536*8


	;; [unrolled: 1-line block ×7, first 2 shown]
s_waitcnt lgkmcnt(0)                               // wait for 120 bytes of kern args
s_mov_b64 s[sgprSrdC+0:sgprSrdC+0+1], s[sgprAddressC+0:sgprAddressC+0+1] // copy addressC
s_mov_b64 s[sgprSrdD+0:sgprSrdD+0+1], s[sgprAddressD+0:sgprAddressD+0+1] // copy addressD
s_sub_u32 s[sgprSrdA+0], s[sgprAddressA+0], 16     // pre-pad to make room for possible pointer shift
s_subb_u32 s[sgprSrdA+1], s[sgprAddressA+1], 0     // pre-pad to make room for possible pointer shift
s_sub_u32 s[sgprSrdB+0], s[sgprAddressB+0], 8      // pre-pad to make room for possible pointer shift
s_subb_u32 s[sgprSrdB+1], s[sgprAddressB+1], 0     // pre-pad to make room for possible pointer shift

.set AddressD, UNDEF
.set AddressC, UNDEF
.set AddressA, UNDEF
.set AddressB, UNDEF

/* Short circuit condition if Alpha == 0, then sumDims=0 */
v_cmp_eq_f32 vcc, s[sgprAlpha], 0.0                // Alpha.real == 0.0f ?
s_cbranch_vccz label_AlphaNonZero                  // branch if Alpha.real != 0
v_cmp_eq_f32 vcc, s[sgprAlpha+1], 0.0              // Alpha.imag == 0.0f ?
s_cbranch_vccz label_AlphaNonZero                  // branch if Alpha.imag != 0
s_mov_b32 s[sgprSizesSum+0], 0x0                   // Set summation dim=0 if Alpha == 0
label_AlphaNonZero:


	;; [unrolled: 1-line block ×3, first 2 shown]
/******************************************/
/* Begin setupNewTile, isPap=False           */
/******************************************/


/* global read addresses: work-group */

/* graWorkGroup mapping */
// GSU-not-WGMapRR :nwg1 = (size1J + MT1J - 1) / MT1J;
s_mov_b32 s76, s[sgprWorkGroup1]                   // copying for divisor
s_mov_b32 s75, 0x0                                 // STATIC_DIV: divisior=5
s_mul_i32 s74, 0x6666, s76                         // tmp1 = dividend * magic hi
s_lshl_b64 s[74:75], s[74:75], 0x10                // left shift 16 bits
s_mul_i32 s[sgprWorkGroup1], s76, 0x6667           // tmp0 = dividend * magic lo
s_add_u32 s74, s[sgprWorkGroup1], s74              // add lo
s_addc_u32 s75, s75, 0x0                           // add hi
s_lshr_b64 s[74:75], s[74:75], 0x21                // tmp1 = (dividend * magic) << shift
s_mov_b32 s[sgprWorkGroup1], s74                   // quotient
s_mul_i32 s74, s[sgprWorkGroup1], 0x5              // quotient*divisor
s_sub_u32 s[sgprGSUSumIdx], s76, s74               // rReg = dividend - quotient*divisor


/* global read addresses: unroll assignment a */

/* v1 */


/* global read addresses: unroll assignment b */

/* v4 */


/* global read addresses: other free assignments */

/* s[sgprWorkGroup2] */


/* global read addresses: tile offsets a */


	;; [unrolled: 1-line block ×3, first 2 shown]
/* global read addresses: tile offsets b */


	;; [unrolled: 1-line block ×3, first 2 shown]
/* global read addresses: unroll offsets a */


	;; [unrolled: 1-line block ×3, first 2 shown]
/* global read addresses: unroll offsets b */



/* global read addresses: branch a */


	;; [unrolled: 1-line block ×3, first 2 shown]
/* global read addresses: branch b */


	;; [unrolled: 1-line block ×3, first 2 shown]
/* global read addresses: final offsets a */

GLOBAL_OFFSET_A vgprGlobalReadOffsetA+0,  0,  1, 6 // gROA_0_0_0_0
s_mul_i32 s[sgprScalarGlobalReadOffsetA+0], s[sgprStrideAL], 0 // compute offset diff (scaled unrollDim)
s_add_u32 s[sgprScalarGlobalReadOffsetA+0], s[sgprScalarGlobalReadOffsetA+0], 32 // compute offset diff (tileDim)
s_lshl_b32 s[sgprScalarGlobalReadOffsetA+0], s[sgprScalarGlobalReadOffsetA+0], 0x3 // scalar offset *= bytes/element
s_mul_i32 s[sgprScalarGlobalReadOffsetA+1], s[sgprStrideAL], 0 // compute offset diff (scaled unrollDim)
s_add_u32 s[sgprScalarGlobalReadOffsetA+1], s[sgprScalarGlobalReadOffsetA+1], 64 // compute offset diff (tileDim)
s_lshl_b32 s[sgprScalarGlobalReadOffsetA+1], s[sgprScalarGlobalReadOffsetA+1], 0x3 // scalar offset *= bytes/element


/* global read addresses: final offsets b */

GLOBAL_OFFSET_B vgprGlobalReadOffsetB+0,  4,  3, 6 // gROB_0_0_0_0
s_mul_i32 s[sgprScalarGlobalReadOffsetB+0], s[sgprStrideB1J], 16 // compute offset diff (scaled tileDim)
s_lshl_b32 s[sgprScalarGlobalReadOffsetB+0], s[sgprScalarGlobalReadOffsetB+0], 0x3 // scalar offset *= bytes/element
s_mul_i32 s[sgprScalarGlobalReadOffsetB+1], s[sgprStrideB1J], 32 // compute offset diff (scaled tileDim)
s_lshl_b32 s[sgprScalarGlobalReadOffsetB+1], s[sgprScalarGlobalReadOffsetB+1], 0x3 // scalar offset *= bytes/element
	;; [unrolled: 2-line block ×15, first 2 shown]


/* global read addresses: addresses a */

/* max read offset = size[n] * stride[n-1] */
s_mul_hi_u32 s75, s[sgprWorkGroup0], 96            // WorkGroup[01] * MT
s_mul_i32 s74, s[sgprWorkGroup0], 96               // WorkGroup[01] * MT
s_mul_hi_u32 s39, 16, s[sgprGSUSumIdx]             // gsuOffset = DepthU*bpe*GSUSumIdx
s_mul_i32 s38, 16, s[sgprGSUSumIdx]                // gsuOffset = DepthU*bpe*GSUSumIdx
s_mul_hi_u32 s39, s38, s[sgprStrideAL]             // tlu=1, scaled unroll-offset by stride
s_mul_i32 s38, s38, s[sgprStrideAL]                // tlu=1, scaled unroll-offset by stride
s_add_u32 s74, s74, s38                            // accum GsuOffset term to tilestart
s_addc_u32 s75, s75, s39                           // accum GsuOffset term to tilestart
s_sub_u32 s[sgprShadowLimitA+0], s[sgprTensor2dSizeA], s74 // sub tileStart
s_subb_u32 s[sgprShadowLimitA+1], s[sgprTensor2dSizeA+1], s75 // sub tileStart
s_lshl_b64 s[sgprShadowLimitA:sgprShadowLimitA+1], s[sgprShadowLimitA:sgprShadowLimitA+1], 0x3 // Set limit to use bytes
s_add_u32 s[sgprShadowLimitA+0], s[sgprShadowLimitA+0], 16 // extend limit for pre-pad
s_addc_u32 s[sgprShadowLimitA+1], s[sgprShadowLimitA+1], 0 // extend limit for pre-pad
s_cmp_eq_u32 s[sgprShadowLimitA+1], 0              // are we within 2^32?
s_cselect_b32 s[sgprSrdA+2], s[sgprShadowLimitA+0], BufferLimitA // Move shadow to real if we are within 2^32
s_mul_hi_u32 s39, s[sgprStrideAK], s[sgprWorkGroup2] // Stride*WG
s_mul_i32 s38, s[sgprStrideAK], s[sgprWorkGroup2]  // Stride*WG
s_add_u32 s74, s74, s38                            // accum wg term to tilestart
s_addc_u32 s75, s75, s39                           // accum wg term to tilestart
s_lshl_b64 s[74:75], s[74:75], 0x3                 // tileStart *= BPE
s_add_u32 s[sgprSrdA+0], s[sgprSrdA+0], s74        // SRD base = Address+ tileStart0
s_addc_u32 s[sgprSrdA+1], s[sgprSrdA+1], s75       // SRD base = Address+ tileStart1
s_mov_b32 s[sgprSrdA+3], Srd127_96                 // Set bits 127_96 in SRD


/* global read addresses: addresses b */

/* max read offset = size[n] * stride[n-1] */
s_mul_hi_u32 s75, s[sgprWorkGroup1], 256           // WorkGroup[01] * MT
s_mul_i32 s74, s[sgprWorkGroup1], 256              // WorkGroup[01] * MT
s_mul_hi_u32 s75, s74, s[sgprStrideB1J]            // tlu=0, scaled tile-offset by stride
s_mul_i32 s74, s74, s[sgprStrideB1J]               // tlu=0, scaled tile-offset by stride
s_mul_hi_u32 s39, 16, s[sgprGSUSumIdx]             // gsuOffset = DepthU*bpe*GSUSumIdx
s_mul_i32 s38, 16, s[sgprGSUSumIdx]                // gsuOffset = DepthU*bpe*GSUSumIdx
s_add_u32 s74, s74, s38                            // accum GsuOffset term to tilestart
s_addc_u32 s75, s75, s39                           // accum GsuOffset term to tilestart
s_sub_u32 s[sgprShadowLimitB+0], s[sgprTensor2dSizeB], s74 // sub tileStart
s_subb_u32 s[sgprShadowLimitB+1], s[sgprTensor2dSizeB+1], s75 // sub tileStart
s_lshl_b64 s[sgprShadowLimitB:sgprShadowLimitB+1], s[sgprShadowLimitB:sgprShadowLimitB+1], 0x3 // Set limit to use bytes
s_add_u32 s[sgprShadowLimitB+0], s[sgprShadowLimitB+0], 8 // extend limit for pre-pad
s_addc_u32 s[sgprShadowLimitB+1], s[sgprShadowLimitB+1], 0 // extend limit for pre-pad
s_cmp_eq_u32 s[sgprShadowLimitB+1], 0              // are we within 2^32?
s_cselect_b32 s[sgprSrdB+2], s[sgprShadowLimitB+0], BufferLimitB // Move shadow to real if we are within 2^32
s_mul_hi_u32 s39, s[sgprStrideBK], s[sgprWorkGroup2] // Stride*WG
s_mul_i32 s38, s[sgprStrideBK], s[sgprWorkGroup2]  // Stride*WG
s_add_u32 s74, s74, s38                            // accum wg term to tilestart
s_addc_u32 s75, s75, s39                           // accum wg term to tilestart
s_lshl_b64 s[74:75], s[74:75], 0x3                 // tileStart *= BPE
s_add_u32 s[sgprSrdB+0], s[sgprSrdB+0], s74        // SRD base = Address+ tileStart0
s_addc_u32 s[sgprSrdB+1], s[sgprSrdB+1], s75       // SRD base = Address+ tileStart1
s_mov_b32 s[sgprSrdB+3], Srd127_96                 // Set bits 127_96 in SRD


/* global read addresses: increments a */

s_mul_i32 s[sgprGlobalReadIncsA+0], DepthU*BpeA*5, s[sgprStrideAL] // incrA unrollIdx)


/* global read addresses: increments b */

s_mov_b32 s[sgprGlobalReadIncsB+0], DepthU*BpeB*5  // incrB (unrollIdx)

/* declare loop num iterations */


s_lshr_b32 s[sgprLoopCounterL], s[sgprSizesSum+0], 4 // s[sgprLoopCounterL] = s[sgprSizesSum+0] / 16
v_mov_b32 v2, s[sgprLoopCounterL]                  // copy for divide IterGsu
s_mov_b32 s74, 0x66666667                          // v0 = v2 / 5
v_mul_hi_u32 v0, v2, s74                           // v0 = v2 / 5
v_lshrrev_b32 v0, 0x1, v0                          // v0 = v2 / 5
s_mov_b32 s74, 0x5                                 // v1 = v2 % 5
v_mul_lo_u32 v1, v0, s74                           // v1 = v2 % 5
_v_sub_u32 v1, v2, v1                              // v1 = v2 % 5
v_readfirstlane_b32 s[sgprLoopCounterL], v0        // 
v_readfirstlane_b32 s[sgprGSUSumIdx+1], v1         // 
s_add_u32 s74, 1, s[sgprLoopCounterL]              // tmp<-numIterMyWg+
s_cmp_lt_u32 s[sgprGSUSumIdx], s[sgprGSUSumIdx+1]  // gsuSumIdx < numIterPerWgRemainder
s_cmov_b32 s[sgprLoopCounterL], s74                // numIterMyWg++ if needed
s_mov_b32 s[sgprOrigLoopCounter], s[sgprLoopCounterL] // copy loop counter

/* local read addresses: init pointers a */


/* localReadInitPointers */

/* local read addresses: init pointers b */


/* localReadInitPointers */


/* prefetch: global -> local */

s_cmp_eq_u32 s[sgprLoopCounterL], 0                // at last iteration?
s_cbranch_scc1 ShadowInitStart_10                  // skip to ShadowInitStart iter b/c numIter==0


_buffer_load_b128 v[vgprG2LA+0:vgprG2LA+0+3], v[vgprGlobalReadOffsetA+0], s[sgprSrdA:sgprSrdA+3], 0, offen offset:0 // G -> Reg 0_0_0_0
_buffer_load_b128 v[vgprG2LA+4:vgprG2LA+4+3], v[vgprGlobalReadOffsetA+0], s[sgprSrdA:sgprSrdA+3], s[sgprScalarGlobalReadOffsetA+0], offen offset:0 // G -> Reg 1_0_0_0
_buffer_load_b128 v[vgprG2LA+8:vgprG2LA+8+3], v[vgprGlobalReadOffsetA+0], s[sgprSrdA:sgprSrdA+3], s[sgprScalarGlobalReadOffsetA+1], offen offset:0 // G -> Reg 2_0_0_0


_buffer_load_b64 v[vgprG2LB+0:vgprG2LB+0+1], v[vgprGlobalReadOffsetB+0], s[sgprSrdB:sgprSrdB+3], 0, offen offset:0 // G -> Reg 0_0_0_0
_buffer_load_b64 v[vgprG2LB+2:vgprG2LB+2+1], v[vgprGlobalReadOffsetB+0], s[sgprSrdB:sgprSrdB+3], s[sgprScalarGlobalReadOffsetB+0], offen offset:0 // G -> Reg 0_0_1_0
_buffer_load_b64 v[vgprG2LB+4:vgprG2LB+4+1], v[vgprGlobalReadOffsetB+0], s[sgprSrdB:sgprSrdB+3], s[sgprScalarGlobalReadOffsetB+1], offen offset:0 // G -> Reg 0_0_2_0
_buffer_load_b64 v[vgprG2LB+6:vgprG2LB+6+1], v[vgprGlobalReadOffsetB+0], s[sgprSrdB:sgprSrdB+3], s[sgprScalarGlobalReadOffsetB+2], offen offset:0 // G -> Reg 0_0_3_0
_buffer_load_b64 v[vgprG2LB+8:vgprG2LB+8+1], v[vgprGlobalReadOffsetB+0], s[sgprSrdB:sgprSrdB+3], s[sgprScalarGlobalReadOffsetB+3], offen offset:0 // G -> Reg 0_0_4_0
_buffer_load_b64 v[vgprG2LB+10:vgprG2LB+10+1], v[vgprGlobalReadOffsetB+0], s[sgprSrdB:sgprSrdB+3], s[sgprScalarGlobalReadOffsetB+4], offen offset:0 // G -> Reg 0_0_5_0
_buffer_load_b64 v[vgprG2LB+12:vgprG2LB+12+1], v[vgprGlobalReadOffsetB+0], s[sgprSrdB:sgprSrdB+3], s[sgprScalarGlobalReadOffsetB+5], offen offset:0 // G -> Reg 0_0_6_0
_buffer_load_b64 v[vgprG2LB+14:vgprG2LB+14+1], v[vgprGlobalReadOffsetB+0], s[sgprSrdB:sgprSrdB+3], s[sgprScalarGlobalReadOffsetB+6], offen offset:0 // G -> Reg 0_0_7_0
_buffer_load_b64 v[vgprG2LB+16:vgprG2LB+16+1], v[vgprGlobalReadOffsetB+0], s[sgprSrdB:sgprSrdB+3], s[sgprScalarGlobalReadOffsetB+7], offen offset:0 // G -> Reg 0_0_8_0
_buffer_load_b64 v[vgprG2LB+18:vgprG2LB+18+1], v[vgprGlobalReadOffsetB+0], s[sgprSrdB:sgprSrdB+3], s[sgprScalarGlobalReadOffsetB+8], offen offset:0 // G -> Reg 0_0_9_0
_buffer_load_b64 v[vgprG2LB+20:vgprG2LB+20+1], v[vgprGlobalReadOffsetB+0], s[sgprSrdB:sgprSrdB+3], s[sgprScalarGlobalReadOffsetB+9], offen offset:0 // G -> Reg 0_0_10_0
_buffer_load_b64 v[vgprG2LB+22:vgprG2LB+22+1], v[vgprGlobalReadOffsetB+0], s[sgprSrdB:sgprSrdB+3], s[sgprScalarGlobalReadOffsetB+10], offen offset:0 // G -> Reg 0_0_11_0
_buffer_load_b64 v[vgprG2LB+24:vgprG2LB+24+1], v[vgprGlobalReadOffsetB+0], s[sgprSrdB:sgprSrdB+3], s[sgprScalarGlobalReadOffsetB+11], offen offset:0 // G -> Reg 0_0_12_0
_buffer_load_b64 v[vgprG2LB+26:vgprG2LB+26+1], v[vgprGlobalReadOffsetB+0], s[sgprSrdB:sgprSrdB+3], s[sgprScalarGlobalReadOffsetB+12], offen offset:0 // G -> Reg 0_0_13_0
_buffer_load_b64 v[vgprG2LB+28:vgprG2LB+28+1], v[vgprGlobalReadOffsetB+0], s[sgprSrdB:sgprSrdB+3], s[sgprScalarGlobalReadOffsetB+13], offen offset:0 // G -> Reg 0_0_14_0
_buffer_load_b64 v[vgprG2LB+30:vgprG2LB+30+1], v[vgprGlobalReadOffsetB+0], s[sgprSrdB:sgprSrdB+3], s[sgprScalarGlobalReadOffsetB+14], offen offset:0 // G -> Reg 0_0_15_0


/* global read inc A loopL */
s_add_u32 s[sgprSrdA+0], s[sgprSrdA+0], s[sgprGlobalReadIncsA+0] // gra SRD += inc(lower)
s_addc_u32  s[sgprSrdA+1], s[sgprSrdA+1], 0        // gra SRD += inc(upper)
s_sub_u32 s[sgprShadowLimitA+0], s[sgprShadowLimitA+0], s[sgprGlobalReadIncsA+0] // limit -= inc)
s_subb_u32 s[sgprShadowLimitA+1], s[sgprShadowLimitA+1], 0 // limit -= inc)
s_cmp_eq_u32 s[sgprShadowLimitA+1], 0              // are we within 2^32?
s_cmov_b32 s[sgprSrdA+2], s[sgprShadowLimitA+0]    // Move shadow to real if we are within 2^32

/* global read inc B loopL */
s_add_u32 s[sgprSrdB+0], s[sgprSrdB+0], s[sgprGlobalReadIncsB+0] // gra SRD += inc(lower)
s_addc_u32  s[sgprSrdB+1], s[sgprSrdB+1], 0        // gra SRD += inc(upper)
s_sub_u32 s[sgprShadowLimitB+0], s[sgprShadowLimitB+0], s[sgprGlobalReadIncsB+0] // limit -= inc)
s_subb_u32 s[sgprShadowLimitB+1], s[sgprShadowLimitB+1], 0 // limit -= inc)
s_cmp_eq_u32 s[sgprShadowLimitB+1], 0              // are we within 2^32?
s_cmov_b32 s[sgprSrdB+2], s[sgprShadowLimitB+0]    // Move shadow to real if we are within 2^32


/******************************************/
/* End setupNewTile, isPap=False             */
/******************************************/

ShadowInitStart_10: // 

s_mov_b32 s[sgprSrdD+2], BufferOOB                 // 
s_mov_b32 s[sgprSrdD+3], Srd127_96                 // Set bits 127_96 in post-loop SRD

s_mov_b32 s[sgprSrdC+2], BufferOOB                 // 
s_mov_b32 s[sgprSrdC+3], Srd127_96                 // Set bits 127_96 in post-loop SRD


s_mul_i32 s76, MT1, s[sgprWorkGroup1]              // <- wg1*MT1
s_mul_hi_u32 s75, s76, s[sgprStrideC1J]            // CScale s76 by Stride
s_mul_i32 s74, s76, s[sgprStrideC1J]               // CScale s76 by Stride
s_lshl_b64 s[74:75], s[74:75], 3                   // scale by bpe
s_add_u32 s[sgprSrdC+0], s[sgprSrdC+0], s74        // add lo to SRD
s_addc_u32 s[sgprSrdC+1], s[sgprSrdC+1], s75       // add hi to SRD
s_mul_hi_u32 s75, s76, s[sgprStrideD1J]            // Scale s76 by Stride
s_mul_i32 s74, s76, s[sgprStrideD1J]               // Scale s76 by Stride
s_lshl_b64 s[74:75], s[74:75], 3                   // scale by bpe
s_add_u32 s[sgprSrdD+0], s[sgprSrdD+0], s74        // add lo to SRD
s_addc_u32 s[sgprSrdD+1], s[sgprSrdD+1], s75       // add hi to SRD

s_mul_hi_u32 s75, s[sgprWorkGroup2], s[sgprStrideCK] // CScale s[sgprWorkGroup2] by Stride
s_mul_i32 s74, s[sgprWorkGroup2], s[sgprStrideCK]  // CScale s[sgprWorkGroup2] by Stride
s_lshl_b64 s[74:75], s[74:75], 3                   // scale by bpe
s_add_u32 s[sgprSrdC+0], s[sgprSrdC+0], s74        // add lo to SRD
s_addc_u32 s[sgprSrdC+1], s[sgprSrdC+1], s75       // add hi to SRD
s_mul_hi_u32 s75, s[sgprWorkGroup2], s[sgprStrideDK] // Scale s[sgprWorkGroup2] by Stride
s_mul_i32 s74, s[sgprWorkGroup2], s[sgprStrideDK]  // Scale s[sgprWorkGroup2] by Stride
s_lshl_b64 s[74:75], s[74:75], 3                   // scale by bpe
s_add_u32 s[sgprSrdD+0], s[sgprSrdD+0], s74        // add lo to SRD
s_addc_u32 s[sgprSrdD+1], s[sgprSrdD+1], s75       // add hi to SRD

// GSU Output Buffer offset: Free0 + (Free1-1)*StrideC1J + (Free2-1)*StrideCK * GSUIdx * bpe
s_mul_hi_u32 s11, s[sgprSizesFree+0], s[sgprGSUSumIdx] // Free0
s_mul_i32 s10, s[sgprSizesFree+0], s[sgprGSUSumIdx] // Free0
s_sub_u32 s37, s[sgprSizesFree+1], 1               // Free1
s_mul_i32 s37, s37, s[sgprGSUSumIdx]               // Free1
s_mul_hi_u32 s39, s37, s[sgprStrideC1J]            // Free1
s_mul_i32 s38, s37, s[sgprStrideC1J]               // Free1
s_add_u32 s10, s10, s38                            // Free1
s_addc_u32 s11, s11, s39                           // Free1
s_sub_u32 s37, s[sgprSizesFree+2], 1               // Free2
s_mul_i32 s37, s37, s[sgprGSUSumIdx]               // Free2
s_mul_hi_u32 s39, s37, s[sgprStrideCK]             // Free2
s_mul_i32 s38, s37, s[sgprStrideCK]                // Free2
s_add_u32 s10, s10, s38                            // Free2
s_addc_u32 s11, s11, s39                           // Free2
s_lshl_b64 s[10:11], s[10:11], 3                   // scale by bpe
s_add_u32 s[sgprSrdD+0], s[sgprSrdD+0], s10        // add lo GSU offset to SRD
s_addc_u32 s[sgprSrdD+1], s[sgprSrdD+1], s11       // add hi GSU offset to SRD


/* initC: remove C-tile 0-0 from pool */

/* initC: remove AB-tile 0-40 from pool */
v_accvgpr_write acc0, 0x0                          // initC
v_accvgpr_write acc1, 0x0                          // initC
v_accvgpr_write acc2, 0x0                          // initC
v_accvgpr_write acc3, 0x0                          // initC
v_accvgpr_write acc4, 0x0                          // initC
v_accvgpr_write acc5, 0x0                          // initC
v_accvgpr_write acc6, 0x0                          // initC
v_accvgpr_write acc7, 0x0                          // initC
v_accvgpr_write acc8, 0x0                          // initC
v_accvgpr_write acc9, 0x0                          // initC
v_accvgpr_write acc10, 0x0                         // initC
v_accvgpr_write acc11, 0x0                         // initC
v_accvgpr_write acc12, 0x0                         // initC
v_accvgpr_write acc13, 0x0                         // initC
v_accvgpr_write acc14, 0x0                         // initC
v_accvgpr_write acc15, 0x0                         // initC
v_accvgpr_write acc16, 0x0                         // initC
v_accvgpr_write acc17, 0x0                         // initC
v_accvgpr_write acc18, 0x0                         // initC
v_accvgpr_write acc19, 0x0                         // initC
v_accvgpr_write acc20, 0x0                         // initC
v_accvgpr_write acc21, 0x0                         // initC
v_accvgpr_write acc22, 0x0                         // initC
v_accvgpr_write acc23, 0x0                         // initC
v_accvgpr_write acc24, 0x0                         // initC
v_accvgpr_write acc25, 0x0                         // initC
v_accvgpr_write acc26, 0x0                         // initC
v_accvgpr_write acc27, 0x0                         // initC
v_accvgpr_write acc28, 0x0                         // initC
v_accvgpr_write acc29, 0x0                         // initC
v_accvgpr_write acc30, 0x0                         // initC
v_accvgpr_write acc31, 0x0                         // initC
v_accvgpr_write acc32, 0x0                         // initC
v_accvgpr_write acc33, 0x0                         // initC
v_accvgpr_write acc34, 0x0                         // initC
v_accvgpr_write acc35, 0x0                         // initC
v_accvgpr_write acc36, 0x0                         // initC
v_accvgpr_write acc37, 0x0                         // initC
v_accvgpr_write acc38, 0x0                         // initC
v_accvgpr_write acc39, 0x0                         // initC
v_accvgpr_write acc40, 0x0                         // initC
v_accvgpr_write acc41, 0x0                         // initC
v_accvgpr_write acc42, 0x0                         // initC
v_accvgpr_write acc43, 0x0                         // initC
v_accvgpr_write acc44, 0x0                         // initC
v_accvgpr_write acc45, 0x0                         // initC
v_accvgpr_write acc46, 0x0                         // initC
v_accvgpr_write acc47, 0x0                         // initC
v_accvgpr_write acc48, 0x0                         // initC
v_accvgpr_write acc49, 0x0                         // initC
v_accvgpr_write acc50, 0x0                         // initC
v_accvgpr_write acc51, 0x0                         // initC
v_accvgpr_write acc52, 0x0                         // initC
v_accvgpr_write acc53, 0x0                         // initC
v_accvgpr_write acc54, 0x0                         // initC
v_accvgpr_write acc55, 0x0                         // initC
v_accvgpr_write acc56, 0x0                         // initC
v_accvgpr_write acc57, 0x0                         // initC
v_accvgpr_write acc58, 0x0                         // initC
v_accvgpr_write acc59, 0x0                         // initC
v_accvgpr_write acc60, 0x0                         // initC
v_accvgpr_write acc61, 0x0                         // initC
v_accvgpr_write acc62, 0x0                         // initC
v_accvgpr_write acc63, 0x0                         // initC
v_accvgpr_write acc64, 0x0                         // initC
v_accvgpr_write acc65, 0x0                         // initC
v_accvgpr_write acc66, 0x0                         // initC
v_accvgpr_write acc67, 0x0                         // initC
v_accvgpr_write acc68, 0x0                         // initC
v_accvgpr_write acc69, 0x0                         // initC
v_accvgpr_write acc70, 0x0                         // initC
v_accvgpr_write acc71, 0x0                         // initC
v_accvgpr_write acc72, 0x0                         // initC
v_accvgpr_write acc73, 0x0                         // initC
v_accvgpr_write acc74, 0x0                         // initC
v_accvgpr_write acc75, 0x0                         // initC
v_accvgpr_write acc76, 0x0                         // initC
v_accvgpr_write acc77, 0x0                         // initC
v_accvgpr_write acc78, 0x0                         // initC
v_accvgpr_write acc79, 0x0                         // initC
v_accvgpr_write acc80, 0x0                         // initC
v_accvgpr_write acc81, 0x0                         // initC
v_accvgpr_write acc82, 0x0                         // initC
v_accvgpr_write acc83, 0x0                         // initC
v_accvgpr_write acc84, 0x0                         // initC
v_accvgpr_write acc85, 0x0                         // initC
v_accvgpr_write acc86, 0x0                         // initC
v_accvgpr_write acc87, 0x0                         // initC
v_accvgpr_write acc88, 0x0                         // initC
v_accvgpr_write acc89, 0x0                         // initC
v_accvgpr_write acc90, 0x0                         // initC
v_accvgpr_write acc91, 0x0                         // initC
v_accvgpr_write acc92, 0x0                         // initC
v_accvgpr_write acc93, 0x0                         // initC
v_accvgpr_write acc94, 0x0                         // initC
v_accvgpr_write acc95, 0x0                         // initC
v_accvgpr_write acc96, 0x0                         // initC
v_accvgpr_write acc97, 0x0                         // initC
v_accvgpr_write acc98, 0x0                         // initC
v_accvgpr_write acc99, 0x0                         // initC
v_accvgpr_write acc100, 0x0                        // initC
v_accvgpr_write acc101, 0x0                        // initC
v_accvgpr_write acc102, 0x0                        // initC
v_accvgpr_write acc103, 0x0                        // initC
v_accvgpr_write acc104, 0x0                        // initC
v_accvgpr_write acc105, 0x0                        // initC
v_accvgpr_write acc106, 0x0                        // initC
v_accvgpr_write acc107, 0x0                        // initC
v_accvgpr_write acc108, 0x0                        // initC
v_accvgpr_write acc109, 0x0                        // initC
v_accvgpr_write acc110, 0x0                        // initC
v_accvgpr_write acc111, 0x0                        // initC
v_accvgpr_write acc112, 0x0                        // initC
v_accvgpr_write acc113, 0x0                        // initC
v_accvgpr_write acc114, 0x0                        // initC
v_accvgpr_write acc115, 0x0                        // initC
v_accvgpr_write acc116, 0x0                        // initC
v_accvgpr_write acc117, 0x0                        // initC
v_accvgpr_write acc118, 0x0                        // initC
v_accvgpr_write acc119, 0x0                        // initC
v_accvgpr_write acc120, 0x0                        // initC
v_accvgpr_write acc121, 0x0                        // initC
v_accvgpr_write acc122, 0x0                        // initC
v_accvgpr_write acc123, 0x0                        // initC
v_accvgpr_write acc124, 0x0                        // initC
v_accvgpr_write acc125, 0x0                        // initC
v_accvgpr_write acc126, 0x0                        // initC
v_accvgpr_write acc127, 0x0                        // initC
v_accvgpr_write acc128, 0x0                        // initC
v_accvgpr_write acc129, 0x0                        // initC
v_accvgpr_write acc130, 0x0                        // initC
v_accvgpr_write acc131, 0x0                        // initC
v_accvgpr_write acc132, 0x0                        // initC
v_accvgpr_write acc133, 0x0                        // initC
v_accvgpr_write acc134, 0x0                        // initC
v_accvgpr_write acc135, 0x0                        // initC
v_accvgpr_write acc136, 0x0                        // initC
v_accvgpr_write acc137, 0x0                        // initC
v_accvgpr_write acc138, 0x0                        // initC
v_accvgpr_write acc139, 0x0                        // initC
v_accvgpr_write acc140, 0x0                        // initC
v_accvgpr_write acc141, 0x0                        // initC
v_accvgpr_write acc142, 0x0                        // initC
v_accvgpr_write acc143, 0x0                        // initC
v_accvgpr_write acc144, 0x0                        // initC
v_accvgpr_write acc145, 0x0                        // initC
v_accvgpr_write acc146, 0x0                        // initC
v_accvgpr_write acc147, 0x0                        // initC
v_accvgpr_write acc148, 0x0                        // initC
v_accvgpr_write acc149, 0x0                        // initC
v_accvgpr_write acc150, 0x0                        // initC
v_accvgpr_write acc151, 0x0                        // initC
v_accvgpr_write acc152, 0x0                        // initC
v_accvgpr_write acc153, 0x0                        // initC
v_accvgpr_write acc154, 0x0                        // initC
v_accvgpr_write acc155, 0x0                        // initC
v_accvgpr_write acc156, 0x0                        // initC
v_accvgpr_write acc157, 0x0                        // initC
v_accvgpr_write acc158, 0x0                        // initC
v_accvgpr_write acc159, 0x0                        // initC
v_accvgpr_write acc160, 0x0                        // initC
v_accvgpr_write acc161, 0x0                        // initC
v_accvgpr_write acc162, 0x0                        // initC
v_accvgpr_write acc163, 0x0                        // initC
v_accvgpr_write acc164, 0x0                        // initC
v_accvgpr_write acc165, 0x0                        // initC
v_accvgpr_write acc166, 0x0                        // initC
v_accvgpr_write acc167, 0x0                        // initC
v_accvgpr_write acc168, 0x0                        // initC
v_accvgpr_write acc169, 0x0                        // initC
v_accvgpr_write acc170, 0x0                        // initC
v_accvgpr_write acc171, 0x0                        // initC
v_accvgpr_write acc172, 0x0                        // initC
v_accvgpr_write acc173, 0x0                        // initC
v_accvgpr_write acc174, 0x0                        // initC
v_accvgpr_write acc175, 0x0                        // initC
v_accvgpr_write acc176, 0x0                        // initC
v_accvgpr_write acc177, 0x0                        // initC
v_accvgpr_write acc178, 0x0                        // initC
v_accvgpr_write acc179, 0x0                        // initC
v_accvgpr_write acc180, 0x0                        // initC
v_accvgpr_write acc181, 0x0                        // initC
v_accvgpr_write acc182, 0x0                        // initC
v_accvgpr_write acc183, 0x0                        // initC
v_accvgpr_write acc184, 0x0                        // initC
v_accvgpr_write acc185, 0x0                        // initC
v_accvgpr_write acc186, 0x0                        // initC
v_accvgpr_write acc187, 0x0                        // initC
v_accvgpr_write acc188, 0x0                        // initC
v_accvgpr_write acc189, 0x0                        // initC
v_accvgpr_write acc190, 0x0                        // initC
v_accvgpr_write acc191, 0x0                        // initC

s_cmp_eq_u32 s[sgprLoopCounterL], 0                // at last iteration?

/* after InitC, skip to end of prefetch last iter if numIter==0 */
s_cbranch_scc0 label_NoBranch_11                   // Only branch on scc1
s_getpc_B64 s[74:75]                               // addr of next instr
s_add_i32 s76, PrefetchGlobalLastIterEnd_5, 0x4    // target branch offset
s_add_u32 s74, s74, s76                            // add target branch offset
s_addc_u32 s75, s75, 0                             // add high and carry
s_setpc_b64 s[74:75]                               // branch to PrefetchGlobalLastIterEnd_5
label_NoBranch_11:

s_waitcnt vmcnt(0)                                 // lgkmcnt=-1 vmcnt=0 8wait for global read


/* local write a */
_ds_store_b128 v[vgprLocalWriteAddrA], v[vgprG2LA+0:vgprG2LA+0+3] offset:0 // lwoA_0_0_0_0 = (0*LSCA) + (0*LSPA)(*MT0I+PAD) = 0
_ds_store_b128 v[vgprLocalWriteAddrA], v[vgprG2LA+4:vgprG2LA+4+3] offset:256 // lwoA_1_0_0_0 = (1*LSCA) + (0*LSPA)(*MT0I+PAD) = 256
_ds_store_b128 v[vgprLocalWriteAddrA], v[vgprG2LA+8:vgprG2LA+8+3] offset:512 // lwoA_2_0_0_0 = (2*LSCA) + (0*LSPA)(*MT0I+PAD) = 512

/* local write b */
_ds_store_b64 v[vgprLocalWriteAddrB], v[vgprG2LB+0:vgprG2LB+0+1] offset:0 // lwoB_0_0_0_0 = (0*LSCB)*(MT1J+PAD) + (0*LSPB) = 0
_ds_store_b64 v[vgprLocalWriteAddrB], v[vgprG2LB+2:vgprG2LB+2+1] offset:2176 // lwoB_0_0_1_0 = (0*LSCB)*(MT1J+PAD) + (1*LSPB) = 2176
_ds_store_b64 v[vgprLocalWriteAddrB], v[vgprG2LB+4:vgprG2LB+4+1] offset:4352 // lwoB_0_0_2_0 = (0*LSCB)*(MT1J+PAD) + (2*LSPB) = 4352
_ds_store_b64 v[vgprLocalWriteAddrB], v[vgprG2LB+6:vgprG2LB+6+1] offset:6528 // lwoB_0_0_3_0 = (0*LSCB)*(MT1J+PAD) + (3*LSPB) = 6528
_ds_store_b64 v[vgprLocalWriteAddrB], v[vgprG2LB+8:vgprG2LB+8+1] offset:8704 // lwoB_0_0_4_0 = (0*LSCB)*(MT1J+PAD) + (4*LSPB) = 8704
_ds_store_b64 v[vgprLocalWriteAddrB], v[vgprG2LB+10:vgprG2LB+10+1] offset:10880 // lwoB_0_0_5_0 = (0*LSCB)*(MT1J+PAD) + (5*LSPB) = 10880
_ds_store_b64 v[vgprLocalWriteAddrB], v[vgprG2LB+12:vgprG2LB+12+1] offset:13056 // lwoB_0_0_6_0 = (0*LSCB)*(MT1J+PAD) + (6*LSPB) = 13056
_ds_store_b64 v[vgprLocalWriteAddrB], v[vgprG2LB+14:vgprG2LB+14+1] offset:15232 // lwoB_0_0_7_0 = (0*LSCB)*(MT1J+PAD) + (7*LSPB) = 15232
_ds_store_b64 v[vgprLocalWriteAddrB], v[vgprG2LB+16:vgprG2LB+16+1] offset:17408 // lwoB_0_0_8_0 = (0*LSCB)*(MT1J+PAD) + (8*LSPB) = 17408
_ds_store_b64 v[vgprLocalWriteAddrB], v[vgprG2LB+18:vgprG2LB+18+1] offset:19584 // lwoB_0_0_9_0 = (0*LSCB)*(MT1J+PAD) + (9*LSPB) = 19584
_ds_store_b64 v[vgprLocalWriteAddrB], v[vgprG2LB+20:vgprG2LB+20+1] offset:21760 // lwoB_0_0_10_0 = (0*LSCB)*(MT1J+PAD) + (10*LSPB) = 21760
_ds_store_b64 v[vgprLocalWriteAddrB], v[vgprG2LB+22:vgprG2LB+22+1] offset:23936 // lwoB_0_0_11_0 = (0*LSCB)*(MT1J+PAD) + (11*LSPB) = 23936
_ds_store_b64 v[vgprLocalWriteAddrB], v[vgprG2LB+24:vgprG2LB+24+1] offset:26112 // lwoB_0_0_12_0 = (0*LSCB)*(MT1J+PAD) + (12*LSPB) = 26112
_ds_store_b64 v[vgprLocalWriteAddrB], v[vgprG2LB+26:vgprG2LB+26+1] offset:28288 // lwoB_0_0_13_0 = (0*LSCB)*(MT1J+PAD) + (13*LSPB) = 28288
_ds_store_b64 v[vgprLocalWriteAddrB], v[vgprG2LB+28:vgprG2LB+28+1] offset:30464 // lwoB_0_0_14_0 = (0*LSCB)*(MT1J+PAD) + (14*LSPB) = 30464
_ds_store_b64 v[vgprLocalWriteAddrB], v[vgprG2LB+30:vgprG2LB+30+1] offset:32640 // lwoB_0_0_15_0 = (0*LSCB)*(MT1J+PAD) + (15*LSPB) = 32640


/* local write swap a */



/* local write swap b */


	;; [unrolled: 1-line block ×4, first 2 shown]
s_cmp_eq_u32 s[sgprLoopCounterL] 0x1               // PGR=2 but only 1 loop
s_cbranch_scc1 label_0012                          // PGR=2 but only 1 loop


_buffer_load_b128 v[vgprG2LA+0:vgprG2LA+0+3], v[vgprGlobalReadOffsetA+0], s[sgprSrdA:sgprSrdA+3], 0, offen offset:0 // G -> Reg 0_0_0_0
_buffer_load_b128 v[vgprG2LA+4:vgprG2LA+4+3], v[vgprGlobalReadOffsetA+0], s[sgprSrdA:sgprSrdA+3], s[sgprScalarGlobalReadOffsetA+0], offen offset:0 // G -> Reg 1_0_0_0
_buffer_load_b128 v[vgprG2LA+8:vgprG2LA+8+3], v[vgprGlobalReadOffsetA+0], s[sgprSrdA:sgprSrdA+3], s[sgprScalarGlobalReadOffsetA+1], offen offset:0 // G -> Reg 2_0_0_0


_buffer_load_b64 v[vgprG2LB+0:vgprG2LB+0+1], v[vgprGlobalReadOffsetB+0], s[sgprSrdB:sgprSrdB+3], 0, offen offset:0 // G -> Reg 0_0_0_0
_buffer_load_b64 v[vgprG2LB+2:vgprG2LB+2+1], v[vgprGlobalReadOffsetB+0], s[sgprSrdB:sgprSrdB+3], s[sgprScalarGlobalReadOffsetB+0], offen offset:0 // G -> Reg 0_0_1_0
_buffer_load_b64 v[vgprG2LB+4:vgprG2LB+4+1], v[vgprGlobalReadOffsetB+0], s[sgprSrdB:sgprSrdB+3], s[sgprScalarGlobalReadOffsetB+1], offen offset:0 // G -> Reg 0_0_2_0
_buffer_load_b64 v[vgprG2LB+6:vgprG2LB+6+1], v[vgprGlobalReadOffsetB+0], s[sgprSrdB:sgprSrdB+3], s[sgprScalarGlobalReadOffsetB+2], offen offset:0 // G -> Reg 0_0_3_0
_buffer_load_b64 v[vgprG2LB+8:vgprG2LB+8+1], v[vgprGlobalReadOffsetB+0], s[sgprSrdB:sgprSrdB+3], s[sgprScalarGlobalReadOffsetB+3], offen offset:0 // G -> Reg 0_0_4_0
_buffer_load_b64 v[vgprG2LB+10:vgprG2LB+10+1], v[vgprGlobalReadOffsetB+0], s[sgprSrdB:sgprSrdB+3], s[sgprScalarGlobalReadOffsetB+4], offen offset:0 // G -> Reg 0_0_5_0
_buffer_load_b64 v[vgprG2LB+12:vgprG2LB+12+1], v[vgprGlobalReadOffsetB+0], s[sgprSrdB:sgprSrdB+3], s[sgprScalarGlobalReadOffsetB+5], offen offset:0 // G -> Reg 0_0_6_0
_buffer_load_b64 v[vgprG2LB+14:vgprG2LB+14+1], v[vgprGlobalReadOffsetB+0], s[sgprSrdB:sgprSrdB+3], s[sgprScalarGlobalReadOffsetB+6], offen offset:0 // G -> Reg 0_0_7_0
_buffer_load_b64 v[vgprG2LB+16:vgprG2LB+16+1], v[vgprGlobalReadOffsetB+0], s[sgprSrdB:sgprSrdB+3], s[sgprScalarGlobalReadOffsetB+7], offen offset:0 // G -> Reg 0_0_8_0
_buffer_load_b64 v[vgprG2LB+18:vgprG2LB+18+1], v[vgprGlobalReadOffsetB+0], s[sgprSrdB:sgprSrdB+3], s[sgprScalarGlobalReadOffsetB+8], offen offset:0 // G -> Reg 0_0_9_0
_buffer_load_b64 v[vgprG2LB+20:vgprG2LB+20+1], v[vgprGlobalReadOffsetB+0], s[sgprSrdB:sgprSrdB+3], s[sgprScalarGlobalReadOffsetB+9], offen offset:0 // G -> Reg 0_0_10_0
_buffer_load_b64 v[vgprG2LB+22:vgprG2LB+22+1], v[vgprGlobalReadOffsetB+0], s[sgprSrdB:sgprSrdB+3], s[sgprScalarGlobalReadOffsetB+10], offen offset:0 // G -> Reg 0_0_11_0
_buffer_load_b64 v[vgprG2LB+24:vgprG2LB+24+1], v[vgprGlobalReadOffsetB+0], s[sgprSrdB:sgprSrdB+3], s[sgprScalarGlobalReadOffsetB+11], offen offset:0 // G -> Reg 0_0_12_0
_buffer_load_b64 v[vgprG2LB+26:vgprG2LB+26+1], v[vgprGlobalReadOffsetB+0], s[sgprSrdB:sgprSrdB+3], s[sgprScalarGlobalReadOffsetB+12], offen offset:0 // G -> Reg 0_0_13_0
_buffer_load_b64 v[vgprG2LB+28:vgprG2LB+28+1], v[vgprGlobalReadOffsetB+0], s[sgprSrdB:sgprSrdB+3], s[sgprScalarGlobalReadOffsetB+13], offen offset:0 // G -> Reg 0_0_14_0
_buffer_load_b64 v[vgprG2LB+30:vgprG2LB+30+1], v[vgprGlobalReadOffsetB+0], s[sgprSrdB:sgprSrdB+3], s[sgprScalarGlobalReadOffsetB+14], offen offset:0 // G -> Reg 0_0_15_0

label_0012:                                        // 

s_waitcnt lgkmcnt(0)                               // lgkmcnt=0 vmcnt=-10prefetch wait for local write

// Skip force waitcnt0
s_barrier //


/* local read prefetch a */

_ds_load_b64 v[vgprValuA_X0_I0+0:vgprValuA_X0_I0+0+1], v[vgprLocalReadAddrA] offset:0 // L -> Reg lro=0 swapByteOffset=0 ti=32 vIdx=0 rIdx=0 oIdx=0 buffer=0 iui=0
_ds_load_b64 v[vgprValuA_X0_I0+2:vgprValuA_X0_I0+2+1], v[vgprLocalReadAddrA] offset:8 // L -> Reg lro=0 swapByteOffset=0 ti=32 vIdx=0 rIdx=0 oIdx=0 buffer=0 iui=0
	;; [unrolled: 1-line block ×6, first 2 shown]


/* local read prefetch b */

_ds_load_b64 v[vgprValuB_X0_I0+0:vgprValuB_X0_I0+0+1], v[vgprLocalReadAddrB] offset:0 // L -> Reg lro=0 swapByteOffset=0 ti=64 vIdx=0 rIdx=0 oIdx=0 buffer=0 iui=0
_ds_load_b64 v[vgprValuB_X0_I0+2:vgprValuB_X0_I0+2+1], v[vgprLocalReadAddrB] offset:8704 // L -> Reg lro=0 swapByteOffset=0 ti=64 vIdx=1 rIdx=0 oIdx=0 buffer=0 iui=0
_ds_load_b64 v[vgprValuB_X0_I0+4:vgprValuB_X0_I0+4+1], v[vgprLocalReadAddrB] offset:17408 // L -> Reg lro=0 swapByteOffset=0 ti=64 vIdx=2 rIdx=0 oIdx=0 buffer=0 iui=0
_ds_load_b64 v[vgprValuB_X0_I0+6:vgprValuB_X0_I0+6+1], v[vgprLocalReadAddrB] offset:26112 // L -> Reg lro=0 swapByteOffset=0 ti=64 vIdx=3 rIdx=0 oIdx=0 buffer=0 iui=0


/* local read inc a */

/* N/A, lro->384 */
/* self.localReadDoCntA 1 self.localReadDoCntB 1 */


/* local read inc b */

/* N/A, lro->4 */
/* self.localReadDoCntA 1 self.localReadDoCntB 1 */


	;; [unrolled: 1-line block ×3, first 2 shown]
/******************************************/
/* Unrolled Loop(s) - Begin               */
/******************************************/

openLoopL_13:
s_cmp_eq_u32 s[sgprLoopCounterL], 0x1              // LoopCounterL < EndCounter
s_cbranch_scc1 label_0014                          // PGR=2 but only 1 loop, toPGR1
s_cmp_le_u32 s[sgprLoopCounterL], 0x2              // LoopCounterL < EndCounter
s_cbranch_scc1 LoopEndL_evenexit_4                 // do not enter LoopL
LoopBeginL_1:


/******************************************/
/* Unrolled Loop 1/2 - Begin              */
/******************************************/

label_0015: // LoopCopy1 


/* Begin Each Unroll: Check VGPR.checkin for INT8 LW */


	;; [unrolled: 1-line block ×3, first 2 shown]
/* iter 0 */

/*  grEndMfmaIndex:4, lwStartMfmaIndex:202, lwEndMfmaIndex:374  */
/*  numMfmaForLR:7, barrierMfmaIndex:376, LocalWritePerMfma:0.105 */
/*  mfmaIndex:0  */
s_waitcnt lgkmcnt(0)                               // lgkmcnt=0 vmcnt=-1wait for prior local read local write old=0, new=0 newLW=0 newLR=0
v_add_f32 v91, -v[vgprValuA_X0_I0+0+0+0+1], 0      // Ai=-Ai
v_mfma_f32_16x16x4_f32 a[0+0:3+0], v[vgprValuB_X0_I0+0+0+0], v[vgprValuA_X0_I0+0+0+0], a[0:3]
 // Cr += Ar*Br
/*  mfmaIndex:1  */
_ds_load_b64 v[vgprValuA_X1_I0+0:vgprValuA_X1_I0+0+1], v[vgprLocalReadAddrA] offset:3072 // L -> Reg lro=384 swapByteOffset=0 ti=32 vIdx=0 rIdx=0 oIdx=0 buffer=1 iui=0
_ds_load_b64 v[vgprValuB_X1_I0+0:vgprValuB_X1_I0+0+1], v[vgprLocalReadAddrB] offset:32 // L -> Reg lro=4 swapByteOffset=0 ti=64 vIdx=0 rIdx=0 oIdx=0 buffer=1 iui=0

/* global read inc A loopL */
s_add_u32 s[sgprSrdA+0], s[sgprSrdA+0], s[sgprGlobalReadIncsA+0] // gra SRD += inc(lower)
s_addc_u32  s[sgprSrdA+1], s[sgprSrdA+1], 0        // gra SRD += inc(upper)
s_sub_u32 s[sgprShadowLimitA+0], s[sgprShadowLimitA+0], s[sgprGlobalReadIncsA+0] // limit -= inc)
v_mfma_f32_16x16x4_f32 a[96+0:99+0], v[vgprValuB_X0_I0+0+0+0], v[vgprValuA_X0_I0+0+0+0+1], a[96:99]
 // Ci += Ai*Br
/*  mfmaIndex:2  */
_ds_load_b64 v[vgprValuA_X1_I0+2:vgprValuA_X1_I0+2+1], v[vgprLocalReadAddrA] offset:3080 // L -> Reg lro=384 swapByteOffset=0 ti=32 vIdx=0 rIdx=0 oIdx=0 buffer=1 iui=0
_ds_load_b64 v[vgprValuA_X1_I0+4:vgprValuA_X1_I0+4+1], v[vgprLocalReadAddrA] offset:3328 // L -> Reg lro=384 swapByteOffset=0 ti=32 vIdx=1 rIdx=0 oIdx=0 buffer=1 iui=0
s_subb_u32 s[sgprShadowLimitA+1], s[sgprShadowLimitA+1], 0 // limit -= inc)
s_cmp_eq_u32 s[sgprShadowLimitA+1], 0              // are we within 2^32?
s_cmov_b32 s[sgprSrdA+2], s[sgprShadowLimitA+0]    // Move shadow to real if we are within 2^32
v_mfma_f32_16x16x4_f32 a[0+0:3+0], v[vgprValuB_X0_I0+0+0+0+1], v91, a[0:3]
 // Cr += -Ai*Bi
/*  mfmaIndex:3  */
_ds_load_b64 v[vgprValuA_X1_I0+6:vgprValuA_X1_I0+6+1], v[vgprLocalReadAddrA] offset:3336 // L -> Reg lro=384 swapByteOffset=0 ti=32 vIdx=1 rIdx=0 oIdx=0 buffer=1 iui=0
_ds_load_b64 v[vgprValuA_X1_I0+8:vgprValuA_X1_I0+8+1], v[vgprLocalReadAddrA] offset:3584 // L -> Reg lro=384 swapByteOffset=0 ti=32 vIdx=2 rIdx=0 oIdx=0 buffer=1 iui=0

/* global read inc B loopL */
s_add_u32 s[sgprSrdB+0], s[sgprSrdB+0], s[sgprGlobalReadIncsB+0] // gra SRD += inc(lower)
s_addc_u32  s[sgprSrdB+1], s[sgprSrdB+1], 0        // gra SRD += inc(upper)
s_sub_u32 s[sgprShadowLimitB+0], s[sgprShadowLimitB+0], s[sgprGlobalReadIncsB+0] // limit -= inc)
v_mfma_f32_16x16x4_f32 a[96+0:99+0], v[vgprValuB_X0_I0+0+0+0+1], v[vgprValuA_X0_I0+0+0+0], a[96:99]
 // Ci += Ar*Bi
/*  mfmaIndex:4  */
_ds_load_b64 v[vgprValuA_X1_I0+10:vgprValuA_X1_I0+10+1], v[vgprLocalReadAddrA] offset:3592 // L -> Reg lro=384 swapByteOffset=0 ti=32 vIdx=2 rIdx=0 oIdx=0 buffer=1 iui=0
_ds_load_b64 v[vgprValuB_X1_I0+2:vgprValuB_X1_I0+2+1], v[vgprLocalReadAddrB] offset:8736 // L -> Reg lro=4 swapByteOffset=0 ti=64 vIdx=1 rIdx=0 oIdx=0 buffer=1 iui=0
s_subb_u32 s[sgprShadowLimitB+1], s[sgprShadowLimitB+1], 0 // limit -= inc)
s_cmp_eq_u32 s[sgprShadowLimitB+1], 0              // are we within 2^32?
s_cmov_b32 s[sgprSrdB+2], s[sgprShadowLimitB+0]    // Move shadow to real if we are within 2^32
v_mfma_f32_16x16x4_f32 a[24+0:27+0], v[vgprValuB_X0_I0+2+0+0], v[vgprValuA_X0_I0+0+0+0], a[24:27]
 // Cr += Ar*Br
/*  mfmaIndex:5  */
_ds_load_b64 v[vgprValuB_X1_I0+4:vgprValuB_X1_I0+4+1], v[vgprLocalReadAddrB] offset:17440 // L -> Reg lro=4 swapByteOffset=0 ti=64 vIdx=2 rIdx=0 oIdx=0 buffer=1 iui=0
_ds_load_b64 v[vgprValuB_X1_I0+6:vgprValuB_X1_I0+6+1], v[vgprLocalReadAddrB] offset:26144 // L -> Reg lro=4 swapByteOffset=0 ti=64 vIdx=3 rIdx=0 oIdx=0 buffer=1 iui=0
/* localReadsVacancy: latencyLeft 1 */
v_mfma_f32_16x16x4_f32 a[120+0:123+0], v[vgprValuB_X0_I0+2+0+0], v[vgprValuA_X0_I0+0+0+0+1], a[120:123]
 // Ci += Ai*Br
/*  mfmaIndex:6  */
/* localReadsVacancy: latencyLeft 5 */
v_mfma_f32_16x16x4_f32 a[24+0:27+0], v[vgprValuB_X0_I0+2+0+0+1], v91, a[24:27]
 // Cr += -Ai*Bi
/*  mfmaIndex:7  */
/* localReadsVacancy: latencyLeft 5 */
v_mfma_f32_16x16x4_f32 a[120+0:123+0], v[vgprValuB_X0_I0+2+0+0+1], v[vgprValuA_X0_I0+0+0+0], a[120:123]
 // Ci += Ar*Bi
/*  mfmaIndex:8  */
/* localReadsVacancy: latencyLeft 5 */
v_mfma_f32_16x16x4_f32 a[48+0:51+0], v[vgprValuB_X0_I0+4+0+0], v[vgprValuA_X0_I0+0+0+0], a[48:51]
 // Cr += Ar*Br
/*  mfmaIndex:9  */
/* localReadsVacancy: latencyLeft 5 */
v_mfma_f32_16x16x4_f32 a[144+0:147+0], v[vgprValuB_X0_I0+4+0+0], v[vgprValuA_X0_I0+0+0+0+1], a[144:147]
 // Ci += Ai*Br
/*  mfmaIndex:10  */
/* localReadsVacancy: latencyLeft 5 */
v_mfma_f32_16x16x4_f32 a[48+0:51+0], v[vgprValuB_X0_I0+4+0+0+1], v91, a[48:51]
 // Cr += -Ai*Bi
/*  mfmaIndex:11  */
/* localReadsVacancy: latencyLeft 5 */
v_mfma_f32_16x16x4_f32 a[144+0:147+0], v[vgprValuB_X0_I0+4+0+0+1], v[vgprValuA_X0_I0+0+0+0], a[144:147]
 // Ci += Ar*Bi
/*  mfmaIndex:12  */
/* localReadsVacancy: latencyLeft 5 */
v_mfma_f32_16x16x4_f32 a[72+0:75+0], v[vgprValuB_X0_I0+6+0+0], v[vgprValuA_X0_I0+0+0+0], a[72:75]
 // Cr += Ar*Br
/*  mfmaIndex:13  */
/* localReadsVacancy: latencyLeft 5 */
v_mfma_f32_16x16x4_f32 a[168+0:171+0], v[vgprValuB_X0_I0+6+0+0], v[vgprValuA_X0_I0+0+0+0+1], a[168:171]
 // Ci += Ai*Br
/*  mfmaIndex:14  */
/* localReadsVacancy: latencyLeft 5 */
v_mfma_f32_16x16x4_f32 a[72+0:75+0], v[vgprValuB_X0_I0+6+0+0+1], v91, a[72:75]
 // Cr += -Ai*Bi
/*  mfmaIndex:15  */
/* localReadsVacancy: latencyLeft 5 */
v_mfma_f32_16x16x4_f32 a[168+0:171+0], v[vgprValuB_X0_I0+6+0+0+1], v[vgprValuA_X0_I0+0+0+0], a[168:171]
 // Ci += Ar*Bi
/*  mfmaIndex:16  */
/* localReadsVacancy: latencyLeft 5 */
v_add_f32 v91, -v[vgprValuA_X0_I0+2+0+0+1], 0      // Ai=-Ai
v_mfma_f32_16x16x4_f32 a[4+0:7+0], v[vgprValuB_X0_I0+0+0+0], v[vgprValuA_X0_I0+2+0+0], a[4:7]
 // Cr += Ar*Br
/*  mfmaIndex:17  */
/* localReadsVacancy: latencyLeft 5 */
v_mfma_f32_16x16x4_f32 a[100+0:103+0], v[vgprValuB_X0_I0+0+0+0], v[vgprValuA_X0_I0+2+0+0+1], a[100:103]
 // Ci += Ai*Br
/*  mfmaIndex:18  */
/* localReadsVacancy: latencyLeft 5 */
v_mfma_f32_16x16x4_f32 a[4+0:7+0], v[vgprValuB_X0_I0+0+0+0+1], v91, a[4:7]
 // Cr += -Ai*Bi
/*  mfmaIndex:19  */
/* localReadsVacancy: latencyLeft 5 */
v_mfma_f32_16x16x4_f32 a[100+0:103+0], v[vgprValuB_X0_I0+0+0+0+1], v[vgprValuA_X0_I0+2+0+0], a[100:103]
 // Ci += Ar*Bi
/*  mfmaIndex:20  */
/* localReadsVacancy: latencyLeft 5 */
v_mfma_f32_16x16x4_f32 a[28+0:31+0], v[vgprValuB_X0_I0+2+0+0], v[vgprValuA_X0_I0+2+0+0], a[28:31]
 // Cr += Ar*Br
/*  mfmaIndex:21  */
/* localReadsVacancy: latencyLeft 5 */
v_mfma_f32_16x16x4_f32 a[124+0:127+0], v[vgprValuB_X0_I0+2+0+0], v[vgprValuA_X0_I0+2+0+0+1], a[124:127]
 // Ci += Ai*Br
/*  mfmaIndex:22  */
/* localReadsVacancy: latencyLeft 5 */
v_mfma_f32_16x16x4_f32 a[28+0:31+0], v[vgprValuB_X0_I0+2+0+0+1], v91, a[28:31]
 // Cr += -Ai*Bi
/*  mfmaIndex:23  */
/* localReadsVacancy: latencyLeft 5 */
v_mfma_f32_16x16x4_f32 a[124+0:127+0], v[vgprValuB_X0_I0+2+0+0+1], v[vgprValuA_X0_I0+2+0+0], a[124:127]
 // Ci += Ar*Bi
/*  mfmaIndex:24  */
/* localReadsVacancy: latencyLeft 5 */
	;; [unrolled: 16-line block ×4, first 2 shown]
v_add_f32 v91, -v[vgprValuA_X0_I0+4+0+0+1], 0      // Ai=-Ai
v_mfma_f32_16x16x4_f32 a[8+0:11+0], v[vgprValuB_X0_I0+0+0+0], v[vgprValuA_X0_I0+4+0+0], a[8:11]
 // Cr += Ar*Br
/*  mfmaIndex:33  */
/* localReadsVacancy: latencyLeft 5 */
v_mfma_f32_16x16x4_f32 a[104+0:107+0], v[vgprValuB_X0_I0+0+0+0], v[vgprValuA_X0_I0+4+0+0+1], a[104:107]
 // Ci += Ai*Br
/*  mfmaIndex:34  */
/* localReadsVacancy: latencyLeft 5 */
v_mfma_f32_16x16x4_f32 a[8+0:11+0], v[vgprValuB_X0_I0+0+0+0+1], v91, a[8:11]
 // Cr += -Ai*Bi
/*  mfmaIndex:35  */
/* localReadsVacancy: latencyLeft 5 */
v_mfma_f32_16x16x4_f32 a[104+0:107+0], v[vgprValuB_X0_I0+0+0+0+1], v[vgprValuA_X0_I0+4+0+0], a[104:107]
 // Ci += Ar*Bi
/*  mfmaIndex:36  */
/* localReadsVacancy: latencyLeft 5 */
v_mfma_f32_16x16x4_f32 a[32+0:35+0], v[vgprValuB_X0_I0+2+0+0], v[vgprValuA_X0_I0+4+0+0], a[32:35]
 // Cr += Ar*Br
/*  mfmaIndex:37  */
/* localReadsVacancy: latencyLeft 5 */
v_mfma_f32_16x16x4_f32 a[128+0:131+0], v[vgprValuB_X0_I0+2+0+0], v[vgprValuA_X0_I0+4+0+0+1], a[128:131]
 // Ci += Ai*Br
/*  mfmaIndex:38  */
/* localReadsVacancy: latencyLeft 5 */
v_mfma_f32_16x16x4_f32 a[32+0:35+0], v[vgprValuB_X0_I0+2+0+0+1], v91, a[32:35]
 // Cr += -Ai*Bi
/*  mfmaIndex:39  */
/* localReadsVacancy: latencyLeft 5 */
v_mfma_f32_16x16x4_f32 a[128+0:131+0], v[vgprValuB_X0_I0+2+0+0+1], v[vgprValuA_X0_I0+4+0+0], a[128:131]
 // Ci += Ar*Bi
/*  mfmaIndex:40  */
/* localReadsVacancy: latencyLeft 5 */
	;; [unrolled: 16-line block ×4, first 2 shown]
v_add_f32 v91, -v[vgprValuA_X0_I0+6+0+0+1], 0      // Ai=-Ai
v_mfma_f32_16x16x4_f32 a[12+0:15+0], v[vgprValuB_X0_I0+0+0+0], v[vgprValuA_X0_I0+6+0+0], a[12:15]
 // Cr += Ar*Br
/*  mfmaIndex:49  */
/* localReadsVacancy: latencyLeft 5 */
v_mfma_f32_16x16x4_f32 a[108+0:111+0], v[vgprValuB_X0_I0+0+0+0], v[vgprValuA_X0_I0+6+0+0+1], a[108:111]
 // Ci += Ai*Br
/*  mfmaIndex:50  */
/* localReadsVacancy: latencyLeft 5 */
v_mfma_f32_16x16x4_f32 a[12+0:15+0], v[vgprValuB_X0_I0+0+0+0+1], v91, a[12:15]
 // Cr += -Ai*Bi
/*  mfmaIndex:51  */
/* localReadsVacancy: latencyLeft 5 */
v_mfma_f32_16x16x4_f32 a[108+0:111+0], v[vgprValuB_X0_I0+0+0+0+1], v[vgprValuA_X0_I0+6+0+0], a[108:111]
 // Ci += Ar*Bi
/*  mfmaIndex:52  */
/* localReadsVacancy: latencyLeft 5 */
v_mfma_f32_16x16x4_f32 a[36+0:39+0], v[vgprValuB_X0_I0+2+0+0], v[vgprValuA_X0_I0+6+0+0], a[36:39]
 // Cr += Ar*Br
/*  mfmaIndex:53  */
/* localReadsVacancy: latencyLeft 5 */
v_mfma_f32_16x16x4_f32 a[132+0:135+0], v[vgprValuB_X0_I0+2+0+0], v[vgprValuA_X0_I0+6+0+0+1], a[132:135]
 // Ci += Ai*Br
/*  mfmaIndex:54  */
/* localReadsVacancy: latencyLeft 5 */
v_mfma_f32_16x16x4_f32 a[36+0:39+0], v[vgprValuB_X0_I0+2+0+0+1], v91, a[36:39]
 // Cr += -Ai*Bi
/*  mfmaIndex:55  */
/* localReadsVacancy: latencyLeft 5 */
v_mfma_f32_16x16x4_f32 a[132+0:135+0], v[vgprValuB_X0_I0+2+0+0+1], v[vgprValuA_X0_I0+6+0+0], a[132:135]
 // Ci += Ar*Bi
/*  mfmaIndex:56  */
/* localReadsVacancy: latencyLeft 5 */
	;; [unrolled: 16-line block ×4, first 2 shown]
v_add_f32 v91, -v[vgprValuA_X0_I0+8+0+0+1], 0      // Ai=-Ai
v_mfma_f32_16x16x4_f32 a[16+0:19+0], v[vgprValuB_X0_I0+0+0+0], v[vgprValuA_X0_I0+8+0+0], a[16:19]
 // Cr += Ar*Br
/*  mfmaIndex:65  */
/* localReadsVacancy: latencyLeft 5 */
v_mfma_f32_16x16x4_f32 a[112+0:115+0], v[vgprValuB_X0_I0+0+0+0], v[vgprValuA_X0_I0+8+0+0+1], a[112:115]
 // Ci += Ai*Br
/*  mfmaIndex:66  */
/* localReadsVacancy: latencyLeft 5 */
v_mfma_f32_16x16x4_f32 a[16+0:19+0], v[vgprValuB_X0_I0+0+0+0+1], v91, a[16:19]
 // Cr += -Ai*Bi
/*  mfmaIndex:67  */
/* localReadsVacancy: latencyLeft 5 */
v_mfma_f32_16x16x4_f32 a[112+0:115+0], v[vgprValuB_X0_I0+0+0+0+1], v[vgprValuA_X0_I0+8+0+0], a[112:115]
 // Ci += Ar*Bi
/*  mfmaIndex:68  */
/* localReadsVacancy: latencyLeft 5 */
v_mfma_f32_16x16x4_f32 a[40+0:43+0], v[vgprValuB_X0_I0+2+0+0], v[vgprValuA_X0_I0+8+0+0], a[40:43]
 // Cr += Ar*Br
/*  mfmaIndex:69  */
/* localReadsVacancy: latencyLeft 5 */
v_mfma_f32_16x16x4_f32 a[136+0:139+0], v[vgprValuB_X0_I0+2+0+0], v[vgprValuA_X0_I0+8+0+0+1], a[136:139]
 // Ci += Ai*Br
/*  mfmaIndex:70  */
/* localReadsVacancy: latencyLeft 5 */
v_mfma_f32_16x16x4_f32 a[40+0:43+0], v[vgprValuB_X0_I0+2+0+0+1], v91, a[40:43]
 // Cr += -Ai*Bi
/*  mfmaIndex:71  */
/* localReadsVacancy: latencyLeft 5 */
v_mfma_f32_16x16x4_f32 a[136+0:139+0], v[vgprValuB_X0_I0+2+0+0+1], v[vgprValuA_X0_I0+8+0+0], a[136:139]
 // Ci += Ar*Bi
/*  mfmaIndex:72  */
/* localReadsVacancy: latencyLeft 5 */
	;; [unrolled: 16-line block ×4, first 2 shown]
v_add_f32 v91, -v[vgprValuA_X0_I0+10+0+0+1], 0     // Ai=-Ai
v_mfma_f32_16x16x4_f32 a[20+0:23+0], v[vgprValuB_X0_I0+0+0+0], v[vgprValuA_X0_I0+10+0+0], a[20:23]
 // Cr += Ar*Br
/*  mfmaIndex:81  */
/* localReadsVacancy: latencyLeft 5 */
v_mfma_f32_16x16x4_f32 a[116+0:119+0], v[vgprValuB_X0_I0+0+0+0], v[vgprValuA_X0_I0+10+0+0+1], a[116:119]
 // Ci += Ai*Br
/*  mfmaIndex:82  */
/* localReadsVacancy: latencyLeft 5 */
v_mfma_f32_16x16x4_f32 a[20+0:23+0], v[vgprValuB_X0_I0+0+0+0+1], v91, a[20:23]
 // Cr += -Ai*Bi
/*  mfmaIndex:83  */
/* localReadsVacancy: latencyLeft 5 */
v_mfma_f32_16x16x4_f32 a[116+0:119+0], v[vgprValuB_X0_I0+0+0+0+1], v[vgprValuA_X0_I0+10+0+0], a[116:119]
 // Ci += Ar*Bi
/*  mfmaIndex:84  */
/* localReadsVacancy: latencyLeft 5 */
v_mfma_f32_16x16x4_f32 a[44+0:47+0], v[vgprValuB_X0_I0+2+0+0], v[vgprValuA_X0_I0+10+0+0], a[44:47]
 // Cr += Ar*Br
/*  mfmaIndex:85  */
/* localReadsVacancy: latencyLeft 5 */
v_mfma_f32_16x16x4_f32 a[140+0:143+0], v[vgprValuB_X0_I0+2+0+0], v[vgprValuA_X0_I0+10+0+0+1], a[140:143]
 // Ci += Ai*Br
/*  mfmaIndex:86  */
/* localReadsVacancy: latencyLeft 5 */
v_mfma_f32_16x16x4_f32 a[44+0:47+0], v[vgprValuB_X0_I0+2+0+0+1], v91, a[44:47]
 // Cr += -Ai*Bi
/*  mfmaIndex:87  */
/* localReadsVacancy: latencyLeft 5 */
v_mfma_f32_16x16x4_f32 a[140+0:143+0], v[vgprValuB_X0_I0+2+0+0+1], v[vgprValuA_X0_I0+10+0+0], a[140:143]
 // Ci += Ar*Bi
/*  mfmaIndex:88  */
/* localReadsVacancy: latencyLeft 5 */
	;; [unrolled: 16-line block ×3, first 2 shown]
v_mfma_f32_16x16x4_f32 a[92+0:95+0], v[vgprValuB_X0_I0+6+0+0], v[vgprValuA_X0_I0+10+0+0], a[92:95]
 // Cr += Ar*Br
/*  mfmaIndex:93  */
/* localReadsVacancy: latencyLeft 5 */
v_mfma_f32_16x16x4_f32 a[188+0:191+0], v[vgprValuB_X0_I0+6+0+0], v[vgprValuA_X0_I0+10+0+0+1], a[188:191]
 // Ci += Ai*Br
/*  mfmaIndex:94  */
/* localReadsVacancy: latencyLeft 5 */
v_mfma_f32_16x16x4_f32 a[92+0:95+0], v[vgprValuB_X0_I0+6+0+0+1], v91, a[92:95]
 // Cr += -Ai*Bi
/*  mfmaIndex:95  */
/* localReadsVacancy: latencyLeft 5 */
v_mfma_f32_16x16x4_f32 a[188+0:191+0], v[vgprValuB_X0_I0+6+0+0+1], v[vgprValuA_X0_I0+10+0+0], a[188:191]
 // Ci += Ar*Bi
/* numPrefetchIter=0 */
/* dataAtIterA=-1 numReadsIterA=1 skipReadsIterA=1 readsPerIterA=6 */
/* dataAtIterB=-1 numReadsIterB=1 skipReadsIterB=1 readsPerIterB=4 */


/* iter 1 */

/*  grEndMfmaIndex:4, lwStartMfmaIndex:202, lwEndMfmaIndex:374  */
/*  numMfmaForLR:7, barrierMfmaIndex:376, LocalWritePerMfma:0.105 */
/*  mfmaIndex:96  */
_ds_load_b64 v[vgprValuA_X0_I0+0:vgprValuA_X0_I0+0+1], v[vgprLocalReadAddrA] offset:6144 // L -> Reg lro=768 swapByteOffset=0 ti=32 vIdx=0 rIdx=0 oIdx=0 buffer=0 iui=0
_ds_load_b64 v[vgprValuB_X0_I0+0:vgprValuB_X0_I0+0+1], v[vgprLocalReadAddrB] offset:64 // L -> Reg lro=8 swapByteOffset=0 ti=64 vIdx=0 rIdx=0 oIdx=0 buffer=0 iui=0
s_waitcnt lgkmcnt(2)                               // lgkmcnt=0 vmcnt=-1wait for prior local read local write old=0, new=2 newLW=0 newLR=2
v_add_f32 v91, -v[vgprValuA_X1_I0+0+0+0+1], 0      // Ai=-Ai
v_mfma_f32_16x16x4_f32 a[0+0:3+0], v[vgprValuB_X1_I0+0+0+0], v[vgprValuA_X1_I0+0+0+0], a[0:3]
 // Cr += Ar*Br
/*  mfmaIndex:97  */
_ds_load_b64 v[vgprValuA_X0_I0+2:vgprValuA_X0_I0+2+1], v[vgprLocalReadAddrA] offset:6152 // L -> Reg lro=768 swapByteOffset=0 ti=32 vIdx=0 rIdx=0 oIdx=0 buffer=0 iui=0
_ds_load_b64 v[vgprValuA_X0_I0+4:vgprValuA_X0_I0+4+1], v[vgprLocalReadAddrA] offset:6400 // L -> Reg lro=768 swapByteOffset=0 ti=32 vIdx=1 rIdx=0 oIdx=0 buffer=0 iui=0
v_mfma_f32_16x16x4_f32 a[96+0:99+0], v[vgprValuB_X1_I0+0+0+0], v[vgprValuA_X1_I0+0+0+0+1], a[96:99]
 // Ci += Ai*Br
/*  mfmaIndex:98  */
_ds_load_b64 v[vgprValuA_X0_I0+6:vgprValuA_X0_I0+6+1], v[vgprLocalReadAddrA] offset:6408 // L -> Reg lro=768 swapByteOffset=0 ti=32 vIdx=1 rIdx=0 oIdx=0 buffer=0 iui=0
_ds_load_b64 v[vgprValuA_X0_I0+8:vgprValuA_X0_I0+8+1], v[vgprLocalReadAddrA] offset:6656 // L -> Reg lro=768 swapByteOffset=0 ti=32 vIdx=2 rIdx=0 oIdx=0 buffer=0 iui=0
v_mfma_f32_16x16x4_f32 a[0+0:3+0], v[vgprValuB_X1_I0+0+0+0+1], v91, a[0:3]
 // Cr += -Ai*Bi
/*  mfmaIndex:99  */
_ds_load_b64 v[vgprValuA_X0_I0+10:vgprValuA_X0_I0+10+1], v[vgprLocalReadAddrA] offset:6664 // L -> Reg lro=768 swapByteOffset=0 ti=32 vIdx=2 rIdx=0 oIdx=0 buffer=0 iui=0
_ds_load_b64 v[vgprValuB_X0_I0+2:vgprValuB_X0_I0+2+1], v[vgprLocalReadAddrB] offset:8768 // L -> Reg lro=8 swapByteOffset=0 ti=64 vIdx=1 rIdx=0 oIdx=0 buffer=0 iui=0
v_mfma_f32_16x16x4_f32 a[96+0:99+0], v[vgprValuB_X1_I0+0+0+0+1], v[vgprValuA_X1_I0+0+0+0], a[96:99]
 // Ci += Ar*Bi
/*  mfmaIndex:100  */
_ds_load_b64 v[vgprValuB_X0_I0+4:vgprValuB_X0_I0+4+1], v[vgprLocalReadAddrB] offset:17472 // L -> Reg lro=8 swapByteOffset=0 ti=64 vIdx=2 rIdx=0 oIdx=0 buffer=0 iui=0
_ds_load_b64 v[vgprValuB_X0_I0+6:vgprValuB_X0_I0+6+1], v[vgprLocalReadAddrB] offset:26176 // L -> Reg lro=8 swapByteOffset=0 ti=64 vIdx=3 rIdx=0 oIdx=0 buffer=0 iui=0
/* localReadsVacancy: latencyLeft 1 */
v_mfma_f32_16x16x4_f32 a[24+0:27+0], v[vgprValuB_X1_I0+2+0+0], v[vgprValuA_X1_I0+0+0+0], a[24:27]
 // Cr += Ar*Br
/*  mfmaIndex:101  */
/* localReadsVacancy: latencyLeft 5 */
v_mfma_f32_16x16x4_f32 a[120+0:123+0], v[vgprValuB_X1_I0+2+0+0], v[vgprValuA_X1_I0+0+0+0+1], a[120:123]
 // Ci += Ai*Br
/*  mfmaIndex:102  */
/* localReadsVacancy: latencyLeft 5 */
v_mfma_f32_16x16x4_f32 a[24+0:27+0], v[vgprValuB_X1_I0+2+0+0+1], v91, a[24:27]
 // Cr += -Ai*Bi
/*  mfmaIndex:103  */
/* localReadsVacancy: latencyLeft 5 */
v_mfma_f32_16x16x4_f32 a[120+0:123+0], v[vgprValuB_X1_I0+2+0+0+1], v[vgprValuA_X1_I0+0+0+0], a[120:123]
 // Ci += Ar*Bi
/*  mfmaIndex:104  */
/* localReadsVacancy: latencyLeft 5 */
v_mfma_f32_16x16x4_f32 a[48+0:51+0], v[vgprValuB_X1_I0+4+0+0], v[vgprValuA_X1_I0+0+0+0], a[48:51]
 // Cr += Ar*Br
/*  mfmaIndex:105  */
/* localReadsVacancy: latencyLeft 5 */
v_mfma_f32_16x16x4_f32 a[144+0:147+0], v[vgprValuB_X1_I0+4+0+0], v[vgprValuA_X1_I0+0+0+0+1], a[144:147]
 // Ci += Ai*Br
/*  mfmaIndex:106  */
/* localReadsVacancy: latencyLeft 5 */
v_mfma_f32_16x16x4_f32 a[48+0:51+0], v[vgprValuB_X1_I0+4+0+0+1], v91, a[48:51]
 // Cr += -Ai*Bi
/*  mfmaIndex:107  */
/* localReadsVacancy: latencyLeft 5 */
v_mfma_f32_16x16x4_f32 a[144+0:147+0], v[vgprValuB_X1_I0+4+0+0+1], v[vgprValuA_X1_I0+0+0+0], a[144:147]
 // Ci += Ar*Bi
/*  mfmaIndex:108  */
	;; [unrolled: 16-line block ×3, first 2 shown]
/* localReadsVacancy: latencyLeft 5 */
v_add_f32 v91, -v[vgprValuA_X1_I0+2+0+0+1], 0      // Ai=-Ai
v_mfma_f32_16x16x4_f32 a[4+0:7+0], v[vgprValuB_X1_I0+0+0+0], v[vgprValuA_X1_I0+2+0+0], a[4:7]
 // Cr += Ar*Br
/*  mfmaIndex:113  */
/* localReadsVacancy: latencyLeft 5 */
v_mfma_f32_16x16x4_f32 a[100+0:103+0], v[vgprValuB_X1_I0+0+0+0], v[vgprValuA_X1_I0+2+0+0+1], a[100:103]
 // Ci += Ai*Br
/*  mfmaIndex:114  */
/* localReadsVacancy: latencyLeft 5 */
v_mfma_f32_16x16x4_f32 a[4+0:7+0], v[vgprValuB_X1_I0+0+0+0+1], v91, a[4:7]
 // Cr += -Ai*Bi
/*  mfmaIndex:115  */
/* localReadsVacancy: latencyLeft 5 */
v_mfma_f32_16x16x4_f32 a[100+0:103+0], v[vgprValuB_X1_I0+0+0+0+1], v[vgprValuA_X1_I0+2+0+0], a[100:103]
 // Ci += Ar*Bi
/*  mfmaIndex:116  */
/* localReadsVacancy: latencyLeft 5 */
v_mfma_f32_16x16x4_f32 a[28+0:31+0], v[vgprValuB_X1_I0+2+0+0], v[vgprValuA_X1_I0+2+0+0], a[28:31]
 // Cr += Ar*Br
/*  mfmaIndex:117  */
/* localReadsVacancy: latencyLeft 5 */
v_mfma_f32_16x16x4_f32 a[124+0:127+0], v[vgprValuB_X1_I0+2+0+0], v[vgprValuA_X1_I0+2+0+0+1], a[124:127]
 // Ci += Ai*Br
/*  mfmaIndex:118  */
/* localReadsVacancy: latencyLeft 5 */
v_mfma_f32_16x16x4_f32 a[28+0:31+0], v[vgprValuB_X1_I0+2+0+0+1], v91, a[28:31]
 // Cr += -Ai*Bi
/*  mfmaIndex:119  */
/* localReadsVacancy: latencyLeft 5 */
v_mfma_f32_16x16x4_f32 a[124+0:127+0], v[vgprValuB_X1_I0+2+0+0+1], v[vgprValuA_X1_I0+2+0+0], a[124:127]
 // Ci += Ar*Bi
/*  mfmaIndex:120  */
/* localReadsVacancy: latencyLeft 5 */
	;; [unrolled: 16-line block ×4, first 2 shown]
v_add_f32 v91, -v[vgprValuA_X1_I0+4+0+0+1], 0      // Ai=-Ai
v_mfma_f32_16x16x4_f32 a[8+0:11+0], v[vgprValuB_X1_I0+0+0+0], v[vgprValuA_X1_I0+4+0+0], a[8:11]
 // Cr += Ar*Br
/*  mfmaIndex:129  */
/* localReadsVacancy: latencyLeft 5 */
v_mfma_f32_16x16x4_f32 a[104+0:107+0], v[vgprValuB_X1_I0+0+0+0], v[vgprValuA_X1_I0+4+0+0+1], a[104:107]
 // Ci += Ai*Br
/*  mfmaIndex:130  */
/* localReadsVacancy: latencyLeft 5 */
v_mfma_f32_16x16x4_f32 a[8+0:11+0], v[vgprValuB_X1_I0+0+0+0+1], v91, a[8:11]
 // Cr += -Ai*Bi
/*  mfmaIndex:131  */
/* localReadsVacancy: latencyLeft 5 */
v_mfma_f32_16x16x4_f32 a[104+0:107+0], v[vgprValuB_X1_I0+0+0+0+1], v[vgprValuA_X1_I0+4+0+0], a[104:107]
 // Ci += Ar*Bi
/*  mfmaIndex:132  */
/* localReadsVacancy: latencyLeft 5 */
v_mfma_f32_16x16x4_f32 a[32+0:35+0], v[vgprValuB_X1_I0+2+0+0], v[vgprValuA_X1_I0+4+0+0], a[32:35]
 // Cr += Ar*Br
/*  mfmaIndex:133  */
/* localReadsVacancy: latencyLeft 5 */
v_mfma_f32_16x16x4_f32 a[128+0:131+0], v[vgprValuB_X1_I0+2+0+0], v[vgprValuA_X1_I0+4+0+0+1], a[128:131]
 // Ci += Ai*Br
/*  mfmaIndex:134  */
/* localReadsVacancy: latencyLeft 5 */
v_mfma_f32_16x16x4_f32 a[32+0:35+0], v[vgprValuB_X1_I0+2+0+0+1], v91, a[32:35]
 // Cr += -Ai*Bi
/*  mfmaIndex:135  */
/* localReadsVacancy: latencyLeft 5 */
v_mfma_f32_16x16x4_f32 a[128+0:131+0], v[vgprValuB_X1_I0+2+0+0+1], v[vgprValuA_X1_I0+4+0+0], a[128:131]
 // Ci += Ar*Bi
/*  mfmaIndex:136  */
/* localReadsVacancy: latencyLeft 5 */
	;; [unrolled: 16-line block ×4, first 2 shown]
v_add_f32 v91, -v[vgprValuA_X1_I0+6+0+0+1], 0      // Ai=-Ai
v_mfma_f32_16x16x4_f32 a[12+0:15+0], v[vgprValuB_X1_I0+0+0+0], v[vgprValuA_X1_I0+6+0+0], a[12:15]
 // Cr += Ar*Br
/*  mfmaIndex:145  */
/* localReadsVacancy: latencyLeft 5 */
v_mfma_f32_16x16x4_f32 a[108+0:111+0], v[vgprValuB_X1_I0+0+0+0], v[vgprValuA_X1_I0+6+0+0+1], a[108:111]
 // Ci += Ai*Br
/*  mfmaIndex:146  */
/* localReadsVacancy: latencyLeft 5 */
v_mfma_f32_16x16x4_f32 a[12+0:15+0], v[vgprValuB_X1_I0+0+0+0+1], v91, a[12:15]
 // Cr += -Ai*Bi
/*  mfmaIndex:147  */
/* localReadsVacancy: latencyLeft 5 */
v_mfma_f32_16x16x4_f32 a[108+0:111+0], v[vgprValuB_X1_I0+0+0+0+1], v[vgprValuA_X1_I0+6+0+0], a[108:111]
 // Ci += Ar*Bi
/*  mfmaIndex:148  */
/* localReadsVacancy: latencyLeft 5 */
v_mfma_f32_16x16x4_f32 a[36+0:39+0], v[vgprValuB_X1_I0+2+0+0], v[vgprValuA_X1_I0+6+0+0], a[36:39]
 // Cr += Ar*Br
/*  mfmaIndex:149  */
/* localReadsVacancy: latencyLeft 5 */
v_mfma_f32_16x16x4_f32 a[132+0:135+0], v[vgprValuB_X1_I0+2+0+0], v[vgprValuA_X1_I0+6+0+0+1], a[132:135]
 // Ci += Ai*Br
/*  mfmaIndex:150  */
/* localReadsVacancy: latencyLeft 5 */
v_mfma_f32_16x16x4_f32 a[36+0:39+0], v[vgprValuB_X1_I0+2+0+0+1], v91, a[36:39]
 // Cr += -Ai*Bi
/*  mfmaIndex:151  */
/* localReadsVacancy: latencyLeft 5 */
v_mfma_f32_16x16x4_f32 a[132+0:135+0], v[vgprValuB_X1_I0+2+0+0+1], v[vgprValuA_X1_I0+6+0+0], a[132:135]
 // Ci += Ar*Bi
/*  mfmaIndex:152  */
/* localReadsVacancy: latencyLeft 5 */
	;; [unrolled: 16-line block ×4, first 2 shown]
v_add_f32 v91, -v[vgprValuA_X1_I0+8+0+0+1], 0      // Ai=-Ai
v_mfma_f32_16x16x4_f32 a[16+0:19+0], v[vgprValuB_X1_I0+0+0+0], v[vgprValuA_X1_I0+8+0+0], a[16:19]
 // Cr += Ar*Br
/*  mfmaIndex:161  */
/* localReadsVacancy: latencyLeft 5 */
v_mfma_f32_16x16x4_f32 a[112+0:115+0], v[vgprValuB_X1_I0+0+0+0], v[vgprValuA_X1_I0+8+0+0+1], a[112:115]
 // Ci += Ai*Br
/*  mfmaIndex:162  */
/* localReadsVacancy: latencyLeft 5 */
v_mfma_f32_16x16x4_f32 a[16+0:19+0], v[vgprValuB_X1_I0+0+0+0+1], v91, a[16:19]
 // Cr += -Ai*Bi
/*  mfmaIndex:163  */
/* localReadsVacancy: latencyLeft 5 */
v_mfma_f32_16x16x4_f32 a[112+0:115+0], v[vgprValuB_X1_I0+0+0+0+1], v[vgprValuA_X1_I0+8+0+0], a[112:115]
 // Ci += Ar*Bi
/*  mfmaIndex:164  */
/* localReadsVacancy: latencyLeft 5 */
v_mfma_f32_16x16x4_f32 a[40+0:43+0], v[vgprValuB_X1_I0+2+0+0], v[vgprValuA_X1_I0+8+0+0], a[40:43]
 // Cr += Ar*Br
/*  mfmaIndex:165  */
/* localReadsVacancy: latencyLeft 5 */
v_mfma_f32_16x16x4_f32 a[136+0:139+0], v[vgprValuB_X1_I0+2+0+0], v[vgprValuA_X1_I0+8+0+0+1], a[136:139]
 // Ci += Ai*Br
/*  mfmaIndex:166  */
/* localReadsVacancy: latencyLeft 5 */
v_mfma_f32_16x16x4_f32 a[40+0:43+0], v[vgprValuB_X1_I0+2+0+0+1], v91, a[40:43]
 // Cr += -Ai*Bi
/*  mfmaIndex:167  */
/* localReadsVacancy: latencyLeft 5 */
v_mfma_f32_16x16x4_f32 a[136+0:139+0], v[vgprValuB_X1_I0+2+0+0+1], v[vgprValuA_X1_I0+8+0+0], a[136:139]
 // Ci += Ar*Bi
/*  mfmaIndex:168  */
/* localReadsVacancy: latencyLeft 5 */
v_mfma_f32_16x16x4_f32 a[64+0:67+0], v[vgprValuB_X1_I0+4+0+0], v[vgprValuA_X1_I0+8+0+0], a[64:67]
 // Cr += Ar*Br
/*  mfmaIndex:169  */
/* localReadsVacancy: latencyLeft 5 */
v_mfma_f32_16x16x4_f32 a[160+0:163+0], v[vgprValuB_X1_I0+4+0+0], v[vgprValuA_X1_I0+8+0+0+1], a[160:163]
 // Ci += Ai*Br
/*  mfmaIndex:170  */
/* localReadsVacancy: latencyLeft 5 */
v_mfma_f32_16x16x4_f32 a[64+0:67+0], v[vgprValuB_X1_I0+4+0+0+1], v91, a[64:67]
 // Cr += -Ai*Bi
/*  mfmaIndex:171  */
/* localReadsVacancy: latencyLeft 5 */
v_mfma_f32_16x16x4_f32 a[160+0:163+0], v[vgprValuB_X1_I0+4+0+0+1], v[vgprValuA_X1_I0+8+0+0], a[160:163]
 // Ci += Ar*Bi
/*  mfmaIndex:172  */
/* localReadsVacancy: latencyLeft 5 */
v_mfma_f32_16x16x4_f32 a[88+0:91+0], v[vgprValuB_X1_I0+6+0+0], v[vgprValuA_X1_I0+8+0+0], a[88:91]
 // Cr += Ar*Br
/*  mfmaIndex:173  */
/* localReadsVacancy: latencyLeft 5 */
v_mfma_f32_16x16x4_f32 a[184+0:187+0], v[vgprValuB_X1_I0+6+0+0], v[vgprValuA_X1_I0+8+0+0+1], a[184:187]
 // Ci += Ai*Br
/*  mfmaIndex:174  */
/* localReadsVacancy: latencyLeft 5 */
v_mfma_f32_16x16x4_f32 a[88+0:91+0], v[vgprValuB_X1_I0+6+0+0+1], v91, a[88:91]
 // Cr += -Ai*Bi
/*  mfmaIndex:175  */
/* localReadsVacancy: latencyLeft 5 */
v_mfma_f32_16x16x4_f32 a[184+0:187+0], v[vgprValuB_X1_I0+6+0+0+1], v[vgprValuA_X1_I0+8+0+0], a[184:187]
 // Ci += Ar*Bi
/*  mfmaIndex:176  */
/* localReadsVacancy: latencyLeft 5 */
v_add_f32 v91, -v[vgprValuA_X1_I0+10+0+0+1], 0     // Ai=-Ai
v_mfma_f32_16x16x4_f32 a[20+0:23+0], v[vgprValuB_X1_I0+0+0+0], v[vgprValuA_X1_I0+10+0+0], a[20:23]
 // Cr += Ar*Br
/*  mfmaIndex:177  */
/* localReadsVacancy: latencyLeft 5 */
v_mfma_f32_16x16x4_f32 a[116+0:119+0], v[vgprValuB_X1_I0+0+0+0], v[vgprValuA_X1_I0+10+0+0+1], a[116:119]
 // Ci += Ai*Br
/*  mfmaIndex:178  */
/* localReadsVacancy: latencyLeft 5 */
v_mfma_f32_16x16x4_f32 a[20+0:23+0], v[vgprValuB_X1_I0+0+0+0+1], v91, a[20:23]
 // Cr += -Ai*Bi
/*  mfmaIndex:179  */
/* localReadsVacancy: latencyLeft 5 */
v_mfma_f32_16x16x4_f32 a[116+0:119+0], v[vgprValuB_X1_I0+0+0+0+1], v[vgprValuA_X1_I0+10+0+0], a[116:119]
 // Ci += Ar*Bi
/*  mfmaIndex:180  */
/* localReadsVacancy: latencyLeft 5 */
v_mfma_f32_16x16x4_f32 a[44+0:47+0], v[vgprValuB_X1_I0+2+0+0], v[vgprValuA_X1_I0+10+0+0], a[44:47]
 // Cr += Ar*Br
/*  mfmaIndex:181  */
/* localReadsVacancy: latencyLeft 5 */
v_mfma_f32_16x16x4_f32 a[140+0:143+0], v[vgprValuB_X1_I0+2+0+0], v[vgprValuA_X1_I0+10+0+0+1], a[140:143]
 // Ci += Ai*Br
/*  mfmaIndex:182  */
/* localReadsVacancy: latencyLeft 5 */
v_mfma_f32_16x16x4_f32 a[44+0:47+0], v[vgprValuB_X1_I0+2+0+0+1], v91, a[44:47]
 // Cr += -Ai*Bi
/*  mfmaIndex:183  */
/* localReadsVacancy: latencyLeft 5 */
v_mfma_f32_16x16x4_f32 a[140+0:143+0], v[vgprValuB_X1_I0+2+0+0+1], v[vgprValuA_X1_I0+10+0+0], a[140:143]
 // Ci += Ar*Bi
/*  mfmaIndex:184  */
/* localReadsVacancy: latencyLeft 5 */
v_mfma_f32_16x16x4_f32 a[68+0:71+0], v[vgprValuB_X1_I0+4+0+0], v[vgprValuA_X1_I0+10+0+0], a[68:71]
 // Cr += Ar*Br
/*  mfmaIndex:185  */
/* localReadsVacancy: latencyLeft 5 */
v_mfma_f32_16x16x4_f32 a[164+0:167+0], v[vgprValuB_X1_I0+4+0+0], v[vgprValuA_X1_I0+10+0+0+1], a[164:167]
 // Ci += Ai*Br
/*  mfmaIndex:186  */
/* localReadsVacancy: latencyLeft 5 */
v_mfma_f32_16x16x4_f32 a[68+0:71+0], v[vgprValuB_X1_I0+4+0+0+1], v91, a[68:71]
 // Cr += -Ai*Bi
/*  mfmaIndex:187  */
/* localReadsVacancy: latencyLeft 5 */
v_mfma_f32_16x16x4_f32 a[164+0:167+0], v[vgprValuB_X1_I0+4+0+0+1], v[vgprValuA_X1_I0+10+0+0], a[164:167]
 // Ci += Ar*Bi
/*  mfmaIndex:188  */
/* localReadsVacancy: latencyLeft 5 */
v_mfma_f32_16x16x4_f32 a[92+0:95+0], v[vgprValuB_X1_I0+6+0+0], v[vgprValuA_X1_I0+10+0+0], a[92:95]
 // Cr += Ar*Br
/*  mfmaIndex:189  */
/* localReadsVacancy: latencyLeft 5 */
v_mfma_f32_16x16x4_f32 a[188+0:191+0], v[vgprValuB_X1_I0+6+0+0], v[vgprValuA_X1_I0+10+0+0+1], a[188:191]
 // Ci += Ai*Br
/*  mfmaIndex:190  */
/* localReadsVacancy: latencyLeft 5 */
v_mfma_f32_16x16x4_f32 a[92+0:95+0], v[vgprValuB_X1_I0+6+0+0+1], v91, a[92:95]
 // Cr += -Ai*Bi
/*  mfmaIndex:191  */
/* localReadsVacancy: latencyLeft 5 */
v_mfma_f32_16x16x4_f32 a[188+0:191+0], v[vgprValuB_X1_I0+6+0+0+1], v[vgprValuA_X1_I0+10+0+0], a[188:191]
 // Ci += Ar*Bi
/* numPrefetchIter=0 */
/* dataAtIterA=0 numReadsIterA=2 skipReadsIterA=1 readsPerIterA=6 */
/* dataAtIterB=0 numReadsIterB=2 skipReadsIterB=1 readsPerIterB=4 */


/* iter 2 (reset local read pointers iteration)  (swap local read pointers iteration)  */

/*  grEndMfmaIndex:4, lwStartMfmaIndex:202, lwEndMfmaIndex:374  */
/*  numMfmaForLR:7, barrierMfmaIndex:376, LocalWritePerMfma:0.105 */
/*  mfmaIndex:192  */
_ds_load_b64 v[vgprValuA_X1_I0+0:vgprValuA_X1_I0+0+1], v[vgprLocalReadAddrA] offset:9216 // L -> Reg lro=1152 swapByteOffset=0 ti=32 vIdx=0 rIdx=0 oIdx=0 buffer=1 iui=0
_ds_load_b64 v[vgprValuB_X1_I0+0:vgprValuB_X1_I0+0+1], v[vgprLocalReadAddrB] offset:96 // L -> Reg lro=12 swapByteOffset=0 ti=64 vIdx=0 rIdx=0 oIdx=0 buffer=1 iui=0
s_waitcnt lgkmcnt(2)                               // lgkmcnt=0 vmcnt=-1wait for prior local read local write old=0, new=2 newLW=0 newLR=2
v_add_f32 v91, -v[vgprValuA_X0_I0+0+0+0+1], 0      // Ai=-Ai
v_mfma_f32_16x16x4_f32 a[0+0:3+0], v[vgprValuB_X0_I0+0+0+0], v[vgprValuA_X0_I0+0+0+0], a[0:3]
 // Cr += Ar*Br
/*  mfmaIndex:193  */
_ds_load_b64 v[vgprValuA_X1_I0+2:vgprValuA_X1_I0+2+1], v[vgprLocalReadAddrA] offset:9224 // L -> Reg lro=1152 swapByteOffset=0 ti=32 vIdx=0 rIdx=0 oIdx=0 buffer=1 iui=0
_ds_load_b64 v[vgprValuA_X1_I0+4:vgprValuA_X1_I0+4+1], v[vgprLocalReadAddrA] offset:9472 // L -> Reg lro=1152 swapByteOffset=0 ti=32 vIdx=1 rIdx=0 oIdx=0 buffer=1 iui=0
v_mfma_f32_16x16x4_f32 a[96+0:99+0], v[vgprValuB_X0_I0+0+0+0], v[vgprValuA_X0_I0+0+0+0+1], a[96:99]
 // Ci += Ai*Br
/*  mfmaIndex:194  */
_ds_load_b64 v[vgprValuA_X1_I0+6:vgprValuA_X1_I0+6+1], v[vgprLocalReadAddrA] offset:9480 // L -> Reg lro=1152 swapByteOffset=0 ti=32 vIdx=1 rIdx=0 oIdx=0 buffer=1 iui=0
_ds_load_b64 v[vgprValuA_X1_I0+8:vgprValuA_X1_I0+8+1], v[vgprLocalReadAddrA] offset:9728 // L -> Reg lro=1152 swapByteOffset=0 ti=32 vIdx=2 rIdx=0 oIdx=0 buffer=1 iui=0
v_mfma_f32_16x16x4_f32 a[0+0:3+0], v[vgprValuB_X0_I0+0+0+0+1], v91, a[0:3]
 // Cr += -Ai*Bi
/*  mfmaIndex:195  */
_ds_load_b64 v[vgprValuA_X1_I0+10:vgprValuA_X1_I0+10+1], v[vgprLocalReadAddrA] offset:9736 // L -> Reg lro=1152 swapByteOffset=0 ti=32 vIdx=2 rIdx=0 oIdx=0 buffer=1 iui=0
_ds_load_b64 v[vgprValuB_X1_I0+2:vgprValuB_X1_I0+2+1], v[vgprLocalReadAddrB] offset:8800 // L -> Reg lro=12 swapByteOffset=0 ti=64 vIdx=1 rIdx=0 oIdx=0 buffer=1 iui=0
v_mfma_f32_16x16x4_f32 a[96+0:99+0], v[vgprValuB_X0_I0+0+0+0+1], v[vgprValuA_X0_I0+0+0+0], a[96:99]
 // Ci += Ar*Bi
/*  mfmaIndex:196  */
_ds_load_b64 v[vgprValuB_X1_I0+4:vgprValuB_X1_I0+4+1], v[vgprLocalReadAddrB] offset:17504 // L -> Reg lro=12 swapByteOffset=0 ti=64 vIdx=2 rIdx=0 oIdx=0 buffer=1 iui=0
_ds_load_b64 v[vgprValuB_X1_I0+6:vgprValuB_X1_I0+6+1], v[vgprLocalReadAddrB] offset:26208 // L -> Reg lro=12 swapByteOffset=0 ti=64 vIdx=3 rIdx=0 oIdx=0 buffer=1 iui=0
/* localReadsVacancy: latencyLeft 1 */
v_mfma_f32_16x16x4_f32 a[24+0:27+0], v[vgprValuB_X0_I0+2+0+0], v[vgprValuA_X0_I0+0+0+0], a[24:27]
 // Cr += Ar*Br
/*  mfmaIndex:197  */
/* localReadsVacancy: latencyLeft 5 */
v_mfma_f32_16x16x4_f32 a[120+0:123+0], v[vgprValuB_X0_I0+2+0+0], v[vgprValuA_X0_I0+0+0+0+1], a[120:123]
 // Ci += Ai*Br
/*  mfmaIndex:198  */
/* localReadsVacancy: latencyLeft 5 */
v_mfma_f32_16x16x4_f32 a[24+0:27+0], v[vgprValuB_X0_I0+2+0+0+1], v91, a[24:27]
 // Cr += -Ai*Bi
/*  mfmaIndex:199  */
/* localReadsVacancy: latencyLeft 5 */
v_mfma_f32_16x16x4_f32 a[120+0:123+0], v[vgprValuB_X0_I0+2+0+0+1], v[vgprValuA_X0_I0+0+0+0], a[120:123]
 // Ci += Ar*Bi
/*  mfmaIndex:200  */
/* localReadsVacancy: latencyLeft 5 */
v_mfma_f32_16x16x4_f32 a[48+0:51+0], v[vgprValuB_X0_I0+4+0+0], v[vgprValuA_X0_I0+0+0+0], a[48:51]
 // Cr += Ar*Br
/*  mfmaIndex:201  */
/* localReadsVacancy: latencyLeft 5 */
/* 1 LDS buffer: read-sync-write */
s_waitcnt lgkmcnt(0)                               // 
s_barrier                                          // 
v_mfma_f32_16x16x4_f32 a[144+0:147+0], v[vgprValuB_X0_I0+4+0+0], v[vgprValuA_X0_I0+0+0+0+1], a[144:147]
 // Ci += Ai*Br
/*  mfmaIndex:202  */
/* sched write - iter 2 writesPerItem=1 */
s_waitcnt vmcnt(0)                                 // lgkmcnt=-1 vmcnt=0wait for global read before writing to local
_ds_store_b128 v[vgprLocalWriteAddrA], v[vgprG2LA+0:vgprG2LA+0+3] offset:0 // lwoA_0_0_0_0 = (0*LSCA) + (0*LSPA)(*MT0I+PAD) = 0
v_mfma_f32_16x16x4_f32 a[48+0:51+0], v[vgprValuB_X0_I0+4+0+0+1], v91, a[48:51]
 // Cr += -Ai*Bi
/*  mfmaIndex:203  */
_buffer_load_b128 v[vgprG2LA+0:vgprG2LA+0+3], v[vgprGlobalReadOffsetA+0], s[sgprSrdA:sgprSrdA+3], 0, offen offset:0 // G -> Reg 0_0_0_0
v_mfma_f32_16x16x4_f32 a[144+0:147+0], v[vgprValuB_X0_I0+4+0+0+1], v[vgprValuA_X0_I0+0+0+0], a[144:147]
 // Ci += Ar*Bi
/*  mfmaIndex:204  */
v_mfma_f32_16x16x4_f32 a[72+0:75+0], v[vgprValuB_X0_I0+6+0+0], v[vgprValuA_X0_I0+0+0+0], a[72:75]
 // Cr += Ar*Br
/*  mfmaIndex:205  */
v_mfma_f32_16x16x4_f32 a[168+0:171+0], v[vgprValuB_X0_I0+6+0+0], v[vgprValuA_X0_I0+0+0+0+1], a[168:171]
 // Ci += Ai*Br
/*  mfmaIndex:206  */
v_mfma_f32_16x16x4_f32 a[72+0:75+0], v[vgprValuB_X0_I0+6+0+0+1], v91, a[72:75]
 // Cr += -Ai*Bi
/*  mfmaIndex:207  */
v_mfma_f32_16x16x4_f32 a[168+0:171+0], v[vgprValuB_X0_I0+6+0+0+1], v[vgprValuA_X0_I0+0+0+0], a[168:171]
 // Ci += Ar*Bi
/*  mfmaIndex:208  */
v_add_f32 v91, -v[vgprValuA_X0_I0+2+0+0+1], 0      // Ai=-Ai
v_mfma_f32_16x16x4_f32 a[4+0:7+0], v[vgprValuB_X0_I0+0+0+0], v[vgprValuA_X0_I0+2+0+0], a[4:7]
 // Cr += Ar*Br
/*  mfmaIndex:209  */
v_mfma_f32_16x16x4_f32 a[100+0:103+0], v[vgprValuB_X0_I0+0+0+0], v[vgprValuA_X0_I0+2+0+0+1], a[100:103]
 // Ci += Ai*Br
/*  mfmaIndex:210  */
v_mfma_f32_16x16x4_f32 a[4+0:7+0], v[vgprValuB_X0_I0+0+0+0+1], v91, a[4:7]
 // Cr += -Ai*Bi
/*  mfmaIndex:211  */
/* sched write - iter 2 writesPerItem=1 */
s_waitcnt vmcnt(0)                                 // lgkmcnt=-1 vmcnt=0wait for global read before writing to local
_ds_store_b128 v[vgprLocalWriteAddrA], v[vgprG2LA+4:vgprG2LA+4+3] offset:256 // lwoA_1_0_0_0 = (1*LSCA) + (0*LSPA)(*MT0I+PAD) = 256
v_mfma_f32_16x16x4_f32 a[100+0:103+0], v[vgprValuB_X0_I0+0+0+0+1], v[vgprValuA_X0_I0+2+0+0], a[100:103]
 // Ci += Ar*Bi
/*  mfmaIndex:212  */
_buffer_load_b128 v[vgprG2LA+4:vgprG2LA+4+3], v[vgprGlobalReadOffsetA+0], s[sgprSrdA:sgprSrdA+3], s[sgprScalarGlobalReadOffsetA+0], offen offset:0 // G -> Reg 1_0_0_0
v_mfma_f32_16x16x4_f32 a[28+0:31+0], v[vgprValuB_X0_I0+2+0+0], v[vgprValuA_X0_I0+2+0+0], a[28:31]
 // Cr += Ar*Br
/*  mfmaIndex:213  */
v_mfma_f32_16x16x4_f32 a[124+0:127+0], v[vgprValuB_X0_I0+2+0+0], v[vgprValuA_X0_I0+2+0+0+1], a[124:127]
 // Ci += Ai*Br
/*  mfmaIndex:214  */
v_mfma_f32_16x16x4_f32 a[28+0:31+0], v[vgprValuB_X0_I0+2+0+0+1], v91, a[28:31]
 // Cr += -Ai*Bi
/*  mfmaIndex:215  */
v_mfma_f32_16x16x4_f32 a[124+0:127+0], v[vgprValuB_X0_I0+2+0+0+1], v[vgprValuA_X0_I0+2+0+0], a[124:127]
 // Ci += Ar*Bi
/*  mfmaIndex:216  */
v_mfma_f32_16x16x4_f32 a[52+0:55+0], v[vgprValuB_X0_I0+4+0+0], v[vgprValuA_X0_I0+2+0+0], a[52:55]
 // Cr += Ar*Br
/*  mfmaIndex:217  */
v_mfma_f32_16x16x4_f32 a[148+0:151+0], v[vgprValuB_X0_I0+4+0+0], v[vgprValuA_X0_I0+2+0+0+1], a[148:151]
 // Ci += Ai*Br
/*  mfmaIndex:218  */
v_mfma_f32_16x16x4_f32 a[52+0:55+0], v[vgprValuB_X0_I0+4+0+0+1], v91, a[52:55]
 // Cr += -Ai*Bi
/*  mfmaIndex:219  */
v_mfma_f32_16x16x4_f32 a[148+0:151+0], v[vgprValuB_X0_I0+4+0+0+1], v[vgprValuA_X0_I0+2+0+0], a[148:151]
 // Ci += Ar*Bi
/*  mfmaIndex:220  */
v_mfma_f32_16x16x4_f32 a[76+0:79+0], v[vgprValuB_X0_I0+6+0+0], v[vgprValuA_X0_I0+2+0+0], a[76:79]
 // Cr += Ar*Br
/*  mfmaIndex:221  */
/* sched write - iter 2 writesPerItem=1 */
s_waitcnt vmcnt(0)                                 // lgkmcnt=-1 vmcnt=0wait for global read before writing to local
_ds_store_b128 v[vgprLocalWriteAddrA], v[vgprG2LA+8:vgprG2LA+8+3] offset:512 // lwoA_2_0_0_0 = (2*LSCA) + (0*LSPA)(*MT0I+PAD) = 512
v_mfma_f32_16x16x4_f32 a[172+0:175+0], v[vgprValuB_X0_I0+6+0+0], v[vgprValuA_X0_I0+2+0+0+1], a[172:175]
 // Ci += Ai*Br
/*  mfmaIndex:222  */
_buffer_load_b128 v[vgprG2LA+8:vgprG2LA+8+3], v[vgprGlobalReadOffsetA+0], s[sgprSrdA:sgprSrdA+3], s[sgprScalarGlobalReadOffsetA+1], offen offset:0 // G -> Reg 2_0_0_0
v_mfma_f32_16x16x4_f32 a[76+0:79+0], v[vgprValuB_X0_I0+6+0+0+1], v91, a[76:79]
 // Cr += -Ai*Bi
/*  mfmaIndex:223  */
v_mfma_f32_16x16x4_f32 a[172+0:175+0], v[vgprValuB_X0_I0+6+0+0+1], v[vgprValuA_X0_I0+2+0+0], a[172:175]
 // Ci += Ar*Bi
/*  mfmaIndex:224  */
v_add_f32 v91, -v[vgprValuA_X0_I0+4+0+0+1], 0      // Ai=-Ai
v_mfma_f32_16x16x4_f32 a[8+0:11+0], v[vgprValuB_X0_I0+0+0+0], v[vgprValuA_X0_I0+4+0+0], a[8:11]
 // Cr += Ar*Br
/*  mfmaIndex:225  */
v_mfma_f32_16x16x4_f32 a[104+0:107+0], v[vgprValuB_X0_I0+0+0+0], v[vgprValuA_X0_I0+4+0+0+1], a[104:107]
 // Ci += Ai*Br
/*  mfmaIndex:226  */
v_mfma_f32_16x16x4_f32 a[8+0:11+0], v[vgprValuB_X0_I0+0+0+0+1], v91, a[8:11]
 // Cr += -Ai*Bi
/*  mfmaIndex:227  */
v_mfma_f32_16x16x4_f32 a[104+0:107+0], v[vgprValuB_X0_I0+0+0+0+1], v[vgprValuA_X0_I0+4+0+0], a[104:107]
 // Ci += Ar*Bi
/*  mfmaIndex:228  */
v_mfma_f32_16x16x4_f32 a[32+0:35+0], v[vgprValuB_X0_I0+2+0+0], v[vgprValuA_X0_I0+4+0+0], a[32:35]
 // Cr += Ar*Br
/*  mfmaIndex:229  */
v_mfma_f32_16x16x4_f32 a[128+0:131+0], v[vgprValuB_X0_I0+2+0+0], v[vgprValuA_X0_I0+4+0+0+1], a[128:131]
 // Ci += Ai*Br
/*  mfmaIndex:230  */
/* sched write - iter 2 writesPerItem=1 */
s_waitcnt vmcnt(0)                                 // lgkmcnt=-1 vmcnt=0wait for global read before writing to local
_ds_store_b64 v[vgprLocalWriteAddrB], v[vgprG2LB+0:vgprG2LB+0+1] offset:0 // lwoB_0_0_0_0 = (0*LSCB)*(MT1J+PAD) + (0*LSPB) = 0
v_mfma_f32_16x16x4_f32 a[32+0:35+0], v[vgprValuB_X0_I0+2+0+0+1], v91, a[32:35]
 // Cr += -Ai*Bi
/*  mfmaIndex:231  */
_buffer_load_b64 v[vgprG2LB+0:vgprG2LB+0+1], v[vgprGlobalReadOffsetB+0], s[sgprSrdB:sgprSrdB+3], 0, offen offset:0 // G -> Reg 0_0_0_0
v_mfma_f32_16x16x4_f32 a[128+0:131+0], v[vgprValuB_X0_I0+2+0+0+1], v[vgprValuA_X0_I0+4+0+0], a[128:131]
 // Ci += Ar*Bi
/*  mfmaIndex:232  */
v_mfma_f32_16x16x4_f32 a[56+0:59+0], v[vgprValuB_X0_I0+4+0+0], v[vgprValuA_X0_I0+4+0+0], a[56:59]
 // Cr += Ar*Br
/*  mfmaIndex:233  */
v_mfma_f32_16x16x4_f32 a[152+0:155+0], v[vgprValuB_X0_I0+4+0+0], v[vgprValuA_X0_I0+4+0+0+1], a[152:155]
 // Ci += Ai*Br
/*  mfmaIndex:234  */
v_mfma_f32_16x16x4_f32 a[56+0:59+0], v[vgprValuB_X0_I0+4+0+0+1], v91, a[56:59]
 // Cr += -Ai*Bi
/*  mfmaIndex:235  */
v_mfma_f32_16x16x4_f32 a[152+0:155+0], v[vgprValuB_X0_I0+4+0+0+1], v[vgprValuA_X0_I0+4+0+0], a[152:155]
 // Ci += Ar*Bi
/*  mfmaIndex:236  */
v_mfma_f32_16x16x4_f32 a[80+0:83+0], v[vgprValuB_X0_I0+6+0+0], v[vgprValuA_X0_I0+4+0+0], a[80:83]
 // Cr += Ar*Br
/*  mfmaIndex:237  */
v_mfma_f32_16x16x4_f32 a[176+0:179+0], v[vgprValuB_X0_I0+6+0+0], v[vgprValuA_X0_I0+4+0+0+1], a[176:179]
 // Ci += Ai*Br
/*  mfmaIndex:238  */
v_mfma_f32_16x16x4_f32 a[80+0:83+0], v[vgprValuB_X0_I0+6+0+0+1], v91, a[80:83]
 // Cr += -Ai*Bi
/*  mfmaIndex:239  */
v_mfma_f32_16x16x4_f32 a[176+0:179+0], v[vgprValuB_X0_I0+6+0+0+1], v[vgprValuA_X0_I0+4+0+0], a[176:179]
 // Ci += Ar*Bi
/*  mfmaIndex:240  */
/* sched write - iter 2 writesPerItem=1 */
s_waitcnt vmcnt(0)                                 // lgkmcnt=-1 vmcnt=0wait for global read before writing to local
_ds_store_b64 v[vgprLocalWriteAddrB], v[vgprG2LB+2:vgprG2LB+2+1] offset:2176 // lwoB_0_0_1_0 = (0*LSCB)*(MT1J+PAD) + (1*LSPB) = 2176
v_add_f32 v91, -v[vgprValuA_X0_I0+6+0+0+1], 0      // Ai=-Ai
v_mfma_f32_16x16x4_f32 a[12+0:15+0], v[vgprValuB_X0_I0+0+0+0], v[vgprValuA_X0_I0+6+0+0], a[12:15]
 // Cr += Ar*Br
/*  mfmaIndex:241  */
_buffer_load_b64 v[vgprG2LB+2:vgprG2LB+2+1], v[vgprGlobalReadOffsetB+0], s[sgprSrdB:sgprSrdB+3], s[sgprScalarGlobalReadOffsetB+0], offen offset:0 // G -> Reg 0_0_1_0
v_mfma_f32_16x16x4_f32 a[108+0:111+0], v[vgprValuB_X0_I0+0+0+0], v[vgprValuA_X0_I0+6+0+0+1], a[108:111]
 // Ci += Ai*Br
/*  mfmaIndex:242  */
v_mfma_f32_16x16x4_f32 a[12+0:15+0], v[vgprValuB_X0_I0+0+0+0+1], v91, a[12:15]
 // Cr += -Ai*Bi
/*  mfmaIndex:243  */
v_mfma_f32_16x16x4_f32 a[108+0:111+0], v[vgprValuB_X0_I0+0+0+0+1], v[vgprValuA_X0_I0+6+0+0], a[108:111]
 // Ci += Ar*Bi
/*  mfmaIndex:244  */
v_mfma_f32_16x16x4_f32 a[36+0:39+0], v[vgprValuB_X0_I0+2+0+0], v[vgprValuA_X0_I0+6+0+0], a[36:39]
 // Cr += Ar*Br
/*  mfmaIndex:245  */
v_mfma_f32_16x16x4_f32 a[132+0:135+0], v[vgprValuB_X0_I0+2+0+0], v[vgprValuA_X0_I0+6+0+0+1], a[132:135]
 // Ci += Ai*Br
/*  mfmaIndex:246  */
v_mfma_f32_16x16x4_f32 a[36+0:39+0], v[vgprValuB_X0_I0+2+0+0+1], v91, a[36:39]
 // Cr += -Ai*Bi
/*  mfmaIndex:247  */
v_mfma_f32_16x16x4_f32 a[132+0:135+0], v[vgprValuB_X0_I0+2+0+0+1], v[vgprValuA_X0_I0+6+0+0], a[132:135]
 // Ci += Ar*Bi
/*  mfmaIndex:248  */
v_mfma_f32_16x16x4_f32 a[60+0:63+0], v[vgprValuB_X0_I0+4+0+0], v[vgprValuA_X0_I0+6+0+0], a[60:63]
 // Cr += Ar*Br
/*  mfmaIndex:249  */
/* sched write - iter 2 writesPerItem=1 */
s_waitcnt vmcnt(0)                                 // lgkmcnt=-1 vmcnt=0wait for global read before writing to local
_ds_store_b64 v[vgprLocalWriteAddrB], v[vgprG2LB+4:vgprG2LB+4+1] offset:4352 // lwoB_0_0_2_0 = (0*LSCB)*(MT1J+PAD) + (2*LSPB) = 4352
v_mfma_f32_16x16x4_f32 a[156+0:159+0], v[vgprValuB_X0_I0+4+0+0], v[vgprValuA_X0_I0+6+0+0+1], a[156:159]
 // Ci += Ai*Br
/*  mfmaIndex:250  */
_buffer_load_b64 v[vgprG2LB+4:vgprG2LB+4+1], v[vgprGlobalReadOffsetB+0], s[sgprSrdB:sgprSrdB+3], s[sgprScalarGlobalReadOffsetB+1], offen offset:0 // G -> Reg 0_0_2_0
v_mfma_f32_16x16x4_f32 a[60+0:63+0], v[vgprValuB_X0_I0+4+0+0+1], v91, a[60:63]
 // Cr += -Ai*Bi
/*  mfmaIndex:251  */
v_mfma_f32_16x16x4_f32 a[156+0:159+0], v[vgprValuB_X0_I0+4+0+0+1], v[vgprValuA_X0_I0+6+0+0], a[156:159]
 // Ci += Ar*Bi
/*  mfmaIndex:252  */
v_mfma_f32_16x16x4_f32 a[84+0:87+0], v[vgprValuB_X0_I0+6+0+0], v[vgprValuA_X0_I0+6+0+0], a[84:87]
 // Cr += Ar*Br
/*  mfmaIndex:253  */
v_mfma_f32_16x16x4_f32 a[180+0:183+0], v[vgprValuB_X0_I0+6+0+0], v[vgprValuA_X0_I0+6+0+0+1], a[180:183]
 // Ci += Ai*Br
/*  mfmaIndex:254  */
v_mfma_f32_16x16x4_f32 a[84+0:87+0], v[vgprValuB_X0_I0+6+0+0+1], v91, a[84:87]
 // Cr += -Ai*Bi
/*  mfmaIndex:255  */
v_mfma_f32_16x16x4_f32 a[180+0:183+0], v[vgprValuB_X0_I0+6+0+0+1], v[vgprValuA_X0_I0+6+0+0], a[180:183]
 // Ci += Ar*Bi
/*  mfmaIndex:256  */
v_add_f32 v91, -v[vgprValuA_X0_I0+8+0+0+1], 0      // Ai=-Ai
v_mfma_f32_16x16x4_f32 a[16+0:19+0], v[vgprValuB_X0_I0+0+0+0], v[vgprValuA_X0_I0+8+0+0], a[16:19]
 // Cr += Ar*Br
/*  mfmaIndex:257  */
v_mfma_f32_16x16x4_f32 a[112+0:115+0], v[vgprValuB_X0_I0+0+0+0], v[vgprValuA_X0_I0+8+0+0+1], a[112:115]
 // Ci += Ai*Br
/*  mfmaIndex:258  */
v_mfma_f32_16x16x4_f32 a[16+0:19+0], v[vgprValuB_X0_I0+0+0+0+1], v91, a[16:19]
 // Cr += -Ai*Bi
/*  mfmaIndex:259  */
/* sched write - iter 2 writesPerItem=1 */
s_waitcnt vmcnt(0)                                 // lgkmcnt=-1 vmcnt=0wait for global read before writing to local
_ds_store_b64 v[vgprLocalWriteAddrB], v[vgprG2LB+6:vgprG2LB+6+1] offset:6528 // lwoB_0_0_3_0 = (0*LSCB)*(MT1J+PAD) + (3*LSPB) = 6528
v_mfma_f32_16x16x4_f32 a[112+0:115+0], v[vgprValuB_X0_I0+0+0+0+1], v[vgprValuA_X0_I0+8+0+0], a[112:115]
 // Ci += Ar*Bi
/*  mfmaIndex:260  */
_buffer_load_b64 v[vgprG2LB+6:vgprG2LB+6+1], v[vgprGlobalReadOffsetB+0], s[sgprSrdB:sgprSrdB+3], s[sgprScalarGlobalReadOffsetB+2], offen offset:0 // G -> Reg 0_0_3_0
v_mfma_f32_16x16x4_f32 a[40+0:43+0], v[vgprValuB_X0_I0+2+0+0], v[vgprValuA_X0_I0+8+0+0], a[40:43]
 // Cr += Ar*Br
/*  mfmaIndex:261  */
v_mfma_f32_16x16x4_f32 a[136+0:139+0], v[vgprValuB_X0_I0+2+0+0], v[vgprValuA_X0_I0+8+0+0+1], a[136:139]
 // Ci += Ai*Br
/*  mfmaIndex:262  */
v_mfma_f32_16x16x4_f32 a[40+0:43+0], v[vgprValuB_X0_I0+2+0+0+1], v91, a[40:43]
 // Cr += -Ai*Bi
/*  mfmaIndex:263  */
v_mfma_f32_16x16x4_f32 a[136+0:139+0], v[vgprValuB_X0_I0+2+0+0+1], v[vgprValuA_X0_I0+8+0+0], a[136:139]
 // Ci += Ar*Bi
/*  mfmaIndex:264  */
v_mfma_f32_16x16x4_f32 a[64+0:67+0], v[vgprValuB_X0_I0+4+0+0], v[vgprValuA_X0_I0+8+0+0], a[64:67]
 // Cr += Ar*Br
/*  mfmaIndex:265  */
v_mfma_f32_16x16x4_f32 a[160+0:163+0], v[vgprValuB_X0_I0+4+0+0], v[vgprValuA_X0_I0+8+0+0+1], a[160:163]
 // Ci += Ai*Br
/*  mfmaIndex:266  */
v_mfma_f32_16x16x4_f32 a[64+0:67+0], v[vgprValuB_X0_I0+4+0+0+1], v91, a[64:67]
 // Cr += -Ai*Bi
/*  mfmaIndex:267  */
v_mfma_f32_16x16x4_f32 a[160+0:163+0], v[vgprValuB_X0_I0+4+0+0+1], v[vgprValuA_X0_I0+8+0+0], a[160:163]
 // Ci += Ar*Bi
/*  mfmaIndex:268  */
/* sched write - iter 2 writesPerItem=1 */
s_waitcnt vmcnt(0)                                 // lgkmcnt=-1 vmcnt=0wait for global read before writing to local
_ds_store_b64 v[vgprLocalWriteAddrB], v[vgprG2LB+8:vgprG2LB+8+1] offset:8704 // lwoB_0_0_4_0 = (0*LSCB)*(MT1J+PAD) + (4*LSPB) = 8704
v_mfma_f32_16x16x4_f32 a[88+0:91+0], v[vgprValuB_X0_I0+6+0+0], v[vgprValuA_X0_I0+8+0+0], a[88:91]
 // Cr += Ar*Br
/*  mfmaIndex:269  */
_buffer_load_b64 v[vgprG2LB+8:vgprG2LB+8+1], v[vgprGlobalReadOffsetB+0], s[sgprSrdB:sgprSrdB+3], s[sgprScalarGlobalReadOffsetB+3], offen offset:0 // G -> Reg 0_0_4_0
v_mfma_f32_16x16x4_f32 a[184+0:187+0], v[vgprValuB_X0_I0+6+0+0], v[vgprValuA_X0_I0+8+0+0+1], a[184:187]
 // Ci += Ai*Br
/*  mfmaIndex:270  */
v_mfma_f32_16x16x4_f32 a[88+0:91+0], v[vgprValuB_X0_I0+6+0+0+1], v91, a[88:91]
 // Cr += -Ai*Bi
/*  mfmaIndex:271  */
v_mfma_f32_16x16x4_f32 a[184+0:187+0], v[vgprValuB_X0_I0+6+0+0+1], v[vgprValuA_X0_I0+8+0+0], a[184:187]
 // Ci += Ar*Bi
/*  mfmaIndex:272  */
v_add_f32 v91, -v[vgprValuA_X0_I0+10+0+0+1], 0     // Ai=-Ai
v_mfma_f32_16x16x4_f32 a[20+0:23+0], v[vgprValuB_X0_I0+0+0+0], v[vgprValuA_X0_I0+10+0+0], a[20:23]
 // Cr += Ar*Br
/*  mfmaIndex:273  */
v_mfma_f32_16x16x4_f32 a[116+0:119+0], v[vgprValuB_X0_I0+0+0+0], v[vgprValuA_X0_I0+10+0+0+1], a[116:119]
 // Ci += Ai*Br
/*  mfmaIndex:274  */
v_mfma_f32_16x16x4_f32 a[20+0:23+0], v[vgprValuB_X0_I0+0+0+0+1], v91, a[20:23]
 // Cr += -Ai*Bi
/*  mfmaIndex:275  */
v_mfma_f32_16x16x4_f32 a[116+0:119+0], v[vgprValuB_X0_I0+0+0+0+1], v[vgprValuA_X0_I0+10+0+0], a[116:119]
 // Ci += Ar*Bi
/*  mfmaIndex:276  */
v_mfma_f32_16x16x4_f32 a[44+0:47+0], v[vgprValuB_X0_I0+2+0+0], v[vgprValuA_X0_I0+10+0+0], a[44:47]
 // Cr += Ar*Br
/*  mfmaIndex:277  */
v_mfma_f32_16x16x4_f32 a[140+0:143+0], v[vgprValuB_X0_I0+2+0+0], v[vgprValuA_X0_I0+10+0+0+1], a[140:143]
 // Ci += Ai*Br
/*  mfmaIndex:278  */
/* sched write - iter 2 writesPerItem=1 */
s_waitcnt vmcnt(0)                                 // lgkmcnt=-1 vmcnt=0wait for global read before writing to local
_ds_store_b64 v[vgprLocalWriteAddrB], v[vgprG2LB+10:vgprG2LB+10+1] offset:10880 // lwoB_0_0_5_0 = (0*LSCB)*(MT1J+PAD) + (5*LSPB) = 10880
v_mfma_f32_16x16x4_f32 a[44+0:47+0], v[vgprValuB_X0_I0+2+0+0+1], v91, a[44:47]
 // Cr += -Ai*Bi
/*  mfmaIndex:279  */
_buffer_load_b64 v[vgprG2LB+10:vgprG2LB+10+1], v[vgprGlobalReadOffsetB+0], s[sgprSrdB:sgprSrdB+3], s[sgprScalarGlobalReadOffsetB+4], offen offset:0 // G -> Reg 0_0_5_0
v_mfma_f32_16x16x4_f32 a[140+0:143+0], v[vgprValuB_X0_I0+2+0+0+1], v[vgprValuA_X0_I0+10+0+0], a[140:143]
 // Ci += Ar*Bi
/*  mfmaIndex:280  */
v_mfma_f32_16x16x4_f32 a[68+0:71+0], v[vgprValuB_X0_I0+4+0+0], v[vgprValuA_X0_I0+10+0+0], a[68:71]
 // Cr += Ar*Br
/*  mfmaIndex:281  */
v_mfma_f32_16x16x4_f32 a[164+0:167+0], v[vgprValuB_X0_I0+4+0+0], v[vgprValuA_X0_I0+10+0+0+1], a[164:167]
 // Ci += Ai*Br
/*  mfmaIndex:282  */
v_mfma_f32_16x16x4_f32 a[68+0:71+0], v[vgprValuB_X0_I0+4+0+0+1], v91, a[68:71]
 // Cr += -Ai*Bi
/*  mfmaIndex:283  */
v_mfma_f32_16x16x4_f32 a[164+0:167+0], v[vgprValuB_X0_I0+4+0+0+1], v[vgprValuA_X0_I0+10+0+0], a[164:167]
 // Ci += Ar*Bi
/*  mfmaIndex:284  */
v_mfma_f32_16x16x4_f32 a[92+0:95+0], v[vgprValuB_X0_I0+6+0+0], v[vgprValuA_X0_I0+10+0+0], a[92:95]
 // Cr += Ar*Br
/*  mfmaIndex:285  */
v_mfma_f32_16x16x4_f32 a[188+0:191+0], v[vgprValuB_X0_I0+6+0+0], v[vgprValuA_X0_I0+10+0+0+1], a[188:191]
 // Ci += Ai*Br
/*  mfmaIndex:286  */
v_mfma_f32_16x16x4_f32 a[92+0:95+0], v[vgprValuB_X0_I0+6+0+0+1], v91, a[92:95]
 // Cr += -Ai*Bi
/*  mfmaIndex:287  */
/* sched write - iter 2 writesPerItem=1 */
s_waitcnt vmcnt(0)                                 // lgkmcnt=-1 vmcnt=0wait for global read before writing to local
_ds_store_b64 v[vgprLocalWriteAddrB], v[vgprG2LB+12:vgprG2LB+12+1] offset:13056 // lwoB_0_0_6_0 = (0*LSCB)*(MT1J+PAD) + (6*LSPB) = 13056

/* local read swap offsets a */

/* local read swap offsets b */

/* local read init pointers a */

/* localReadInitPointers */

/* local read init pointers b */

/* localReadInitPointers */
v_mfma_f32_16x16x4_f32 a[188+0:191+0], v[vgprValuB_X0_I0+6+0+0+1], v[vgprValuA_X0_I0+10+0+0], a[188:191]
 // Ci += Ar*Bi
/* numPrefetchIter=0 */
/* dataAtIterA=1 numReadsIterA=3 skipReadsIterA=1 readsPerIterA=6 */
/* dataAtIterB=1 numReadsIterB=3 skipReadsIterB=1 readsPerIterB=4 */


/* iter 3 (swap and reset local write pointers iteration)  */

/*  grEndMfmaIndex:4, lwStartMfmaIndex:202, lwEndMfmaIndex:374  */
/*  numMfmaForLR:7, barrierMfmaIndex:376, LocalWritePerMfma:0.105 */
/*  mfmaIndex:288  */
_buffer_load_b64 v[vgprG2LB+12:vgprG2LB+12+1], v[vgprGlobalReadOffsetB+0], s[sgprSrdB:sgprSrdB+3], s[sgprScalarGlobalReadOffsetB+5], offen offset:0 // G -> Reg 0_0_6_0
s_waitcnt lgkmcnt(10)                              // lgkmcnt=0 vmcnt=-1wait for prior local read local write old=0, new=10 newLW=10 newLR=0
v_add_f32 v91, -v[vgprValuA_X1_I0+0+0+0+1], 0      // Ai=-Ai
v_mfma_f32_16x16x4_f32 a[0+0:3+0], v[vgprValuB_X1_I0+0+0+0], v[vgprValuA_X1_I0+0+0+0], a[0:3]
 // Cr += Ar*Br
/*  mfmaIndex:289  */
v_mfma_f32_16x16x4_f32 a[96+0:99+0], v[vgprValuB_X1_I0+0+0+0], v[vgprValuA_X1_I0+0+0+0+1], a[96:99]
 // Ci += Ai*Br
/*  mfmaIndex:290  */
v_mfma_f32_16x16x4_f32 a[0+0:3+0], v[vgprValuB_X1_I0+0+0+0+1], v91, a[0:3]
 // Cr += -Ai*Bi
/*  mfmaIndex:291  */
v_mfma_f32_16x16x4_f32 a[96+0:99+0], v[vgprValuB_X1_I0+0+0+0+1], v[vgprValuA_X1_I0+0+0+0], a[96:99]
 // Ci += Ar*Bi
/*  mfmaIndex:292  */
v_mfma_f32_16x16x4_f32 a[24+0:27+0], v[vgprValuB_X1_I0+2+0+0], v[vgprValuA_X1_I0+0+0+0], a[24:27]
 // Cr += Ar*Br
/*  mfmaIndex:293  */
v_mfma_f32_16x16x4_f32 a[120+0:123+0], v[vgprValuB_X1_I0+2+0+0], v[vgprValuA_X1_I0+0+0+0+1], a[120:123]
 // Ci += Ai*Br
/*  mfmaIndex:294  */
v_mfma_f32_16x16x4_f32 a[24+0:27+0], v[vgprValuB_X1_I0+2+0+0+1], v91, a[24:27]
 // Cr += -Ai*Bi
/*  mfmaIndex:295  */
v_mfma_f32_16x16x4_f32 a[120+0:123+0], v[vgprValuB_X1_I0+2+0+0+1], v[vgprValuA_X1_I0+0+0+0], a[120:123]
 // Ci += Ar*Bi
/*  mfmaIndex:296  */
v_mfma_f32_16x16x4_f32 a[48+0:51+0], v[vgprValuB_X1_I0+4+0+0], v[vgprValuA_X1_I0+0+0+0], a[48:51]
 // Cr += Ar*Br
/*  mfmaIndex:297  */
/* sched write - iter 3 writesPerItem=1 */
s_waitcnt vmcnt(0)                                 // lgkmcnt=-1 vmcnt=0wait for global read before writing to local
_ds_store_b64 v[vgprLocalWriteAddrB], v[vgprG2LB+14:vgprG2LB+14+1] offset:15232 // lwoB_0_0_7_0 = (0*LSCB)*(MT1J+PAD) + (7*LSPB) = 15232
v_mfma_f32_16x16x4_f32 a[144+0:147+0], v[vgprValuB_X1_I0+4+0+0], v[vgprValuA_X1_I0+0+0+0+1], a[144:147]
 // Ci += Ai*Br
/*  mfmaIndex:298  */
_buffer_load_b64 v[vgprG2LB+14:vgprG2LB+14+1], v[vgprGlobalReadOffsetB+0], s[sgprSrdB:sgprSrdB+3], s[sgprScalarGlobalReadOffsetB+6], offen offset:0 // G -> Reg 0_0_7_0
v_mfma_f32_16x16x4_f32 a[48+0:51+0], v[vgprValuB_X1_I0+4+0+0+1], v91, a[48:51]
 // Cr += -Ai*Bi
/*  mfmaIndex:299  */
v_mfma_f32_16x16x4_f32 a[144+0:147+0], v[vgprValuB_X1_I0+4+0+0+1], v[vgprValuA_X1_I0+0+0+0], a[144:147]
 // Ci += Ar*Bi
/*  mfmaIndex:300  */
v_mfma_f32_16x16x4_f32 a[72+0:75+0], v[vgprValuB_X1_I0+6+0+0], v[vgprValuA_X1_I0+0+0+0], a[72:75]
 // Cr += Ar*Br
/*  mfmaIndex:301  */
v_mfma_f32_16x16x4_f32 a[168+0:171+0], v[vgprValuB_X1_I0+6+0+0], v[vgprValuA_X1_I0+0+0+0+1], a[168:171]
 // Ci += Ai*Br
/*  mfmaIndex:302  */
v_mfma_f32_16x16x4_f32 a[72+0:75+0], v[vgprValuB_X1_I0+6+0+0+1], v91, a[72:75]
 // Cr += -Ai*Bi
/*  mfmaIndex:303  */
v_mfma_f32_16x16x4_f32 a[168+0:171+0], v[vgprValuB_X1_I0+6+0+0+1], v[vgprValuA_X1_I0+0+0+0], a[168:171]
 // Ci += Ar*Bi
/*  mfmaIndex:304  */
v_add_f32 v91, -v[vgprValuA_X1_I0+2+0+0+1], 0      // Ai=-Ai
v_mfma_f32_16x16x4_f32 a[4+0:7+0], v[vgprValuB_X1_I0+0+0+0], v[vgprValuA_X1_I0+2+0+0], a[4:7]
 // Cr += Ar*Br
/*  mfmaIndex:305  */
v_mfma_f32_16x16x4_f32 a[100+0:103+0], v[vgprValuB_X1_I0+0+0+0], v[vgprValuA_X1_I0+2+0+0+1], a[100:103]
 // Ci += Ai*Br
/*  mfmaIndex:306  */
/* sched write - iter 3 writesPerItem=1 */
s_waitcnt vmcnt(0)                                 // lgkmcnt=-1 vmcnt=0wait for global read before writing to local
_ds_store_b64 v[vgprLocalWriteAddrB], v[vgprG2LB+16:vgprG2LB+16+1] offset:17408 // lwoB_0_0_8_0 = (0*LSCB)*(MT1J+PAD) + (8*LSPB) = 17408
v_mfma_f32_16x16x4_f32 a[4+0:7+0], v[vgprValuB_X1_I0+0+0+0+1], v91, a[4:7]
 // Cr += -Ai*Bi
/*  mfmaIndex:307  */
_buffer_load_b64 v[vgprG2LB+16:vgprG2LB+16+1], v[vgprGlobalReadOffsetB+0], s[sgprSrdB:sgprSrdB+3], s[sgprScalarGlobalReadOffsetB+7], offen offset:0 // G -> Reg 0_0_8_0
v_mfma_f32_16x16x4_f32 a[100+0:103+0], v[vgprValuB_X1_I0+0+0+0+1], v[vgprValuA_X1_I0+2+0+0], a[100:103]
 // Ci += Ar*Bi
/*  mfmaIndex:308  */
v_mfma_f32_16x16x4_f32 a[28+0:31+0], v[vgprValuB_X1_I0+2+0+0], v[vgprValuA_X1_I0+2+0+0], a[28:31]
 // Cr += Ar*Br
/*  mfmaIndex:309  */
v_mfma_f32_16x16x4_f32 a[124+0:127+0], v[vgprValuB_X1_I0+2+0+0], v[vgprValuA_X1_I0+2+0+0+1], a[124:127]
 // Ci += Ai*Br
/*  mfmaIndex:310  */
v_mfma_f32_16x16x4_f32 a[28+0:31+0], v[vgprValuB_X1_I0+2+0+0+1], v91, a[28:31]
 // Cr += -Ai*Bi
/*  mfmaIndex:311  */
v_mfma_f32_16x16x4_f32 a[124+0:127+0], v[vgprValuB_X1_I0+2+0+0+1], v[vgprValuA_X1_I0+2+0+0], a[124:127]
 // Ci += Ar*Bi
/*  mfmaIndex:312  */
v_mfma_f32_16x16x4_f32 a[52+0:55+0], v[vgprValuB_X1_I0+4+0+0], v[vgprValuA_X1_I0+2+0+0], a[52:55]
 // Cr += Ar*Br
/*  mfmaIndex:313  */
v_mfma_f32_16x16x4_f32 a[148+0:151+0], v[vgprValuB_X1_I0+4+0+0], v[vgprValuA_X1_I0+2+0+0+1], a[148:151]
 // Ci += Ai*Br
/*  mfmaIndex:314  */
v_mfma_f32_16x16x4_f32 a[52+0:55+0], v[vgprValuB_X1_I0+4+0+0+1], v91, a[52:55]
 // Cr += -Ai*Bi
/*  mfmaIndex:315  */
v_mfma_f32_16x16x4_f32 a[148+0:151+0], v[vgprValuB_X1_I0+4+0+0+1], v[vgprValuA_X1_I0+2+0+0], a[148:151]
 // Ci += Ar*Bi
/*  mfmaIndex:316  */
/* sched write - iter 3 writesPerItem=1 */
s_waitcnt vmcnt(0)                                 // lgkmcnt=-1 vmcnt=0wait for global read before writing to local
_ds_store_b64 v[vgprLocalWriteAddrB], v[vgprG2LB+18:vgprG2LB+18+1] offset:19584 // lwoB_0_0_9_0 = (0*LSCB)*(MT1J+PAD) + (9*LSPB) = 19584
v_mfma_f32_16x16x4_f32 a[76+0:79+0], v[vgprValuB_X1_I0+6+0+0], v[vgprValuA_X1_I0+2+0+0], a[76:79]
 // Cr += Ar*Br
/*  mfmaIndex:317  */
_buffer_load_b64 v[vgprG2LB+18:vgprG2LB+18+1], v[vgprGlobalReadOffsetB+0], s[sgprSrdB:sgprSrdB+3], s[sgprScalarGlobalReadOffsetB+8], offen offset:0 // G -> Reg 0_0_9_0
v_mfma_f32_16x16x4_f32 a[172+0:175+0], v[vgprValuB_X1_I0+6+0+0], v[vgprValuA_X1_I0+2+0+0+1], a[172:175]
 // Ci += Ai*Br
/*  mfmaIndex:318  */
v_mfma_f32_16x16x4_f32 a[76+0:79+0], v[vgprValuB_X1_I0+6+0+0+1], v91, a[76:79]
 // Cr += -Ai*Bi
/*  mfmaIndex:319  */
v_mfma_f32_16x16x4_f32 a[172+0:175+0], v[vgprValuB_X1_I0+6+0+0+1], v[vgprValuA_X1_I0+2+0+0], a[172:175]
 // Ci += Ar*Bi
/*  mfmaIndex:320  */
v_add_f32 v91, -v[vgprValuA_X1_I0+4+0+0+1], 0      // Ai=-Ai
v_mfma_f32_16x16x4_f32 a[8+0:11+0], v[vgprValuB_X1_I0+0+0+0], v[vgprValuA_X1_I0+4+0+0], a[8:11]
 // Cr += Ar*Br
/*  mfmaIndex:321  */
v_mfma_f32_16x16x4_f32 a[104+0:107+0], v[vgprValuB_X1_I0+0+0+0], v[vgprValuA_X1_I0+4+0+0+1], a[104:107]
 // Ci += Ai*Br
/*  mfmaIndex:322  */
v_mfma_f32_16x16x4_f32 a[8+0:11+0], v[vgprValuB_X1_I0+0+0+0+1], v91, a[8:11]
 // Cr += -Ai*Bi
/*  mfmaIndex:323  */
v_mfma_f32_16x16x4_f32 a[104+0:107+0], v[vgprValuB_X1_I0+0+0+0+1], v[vgprValuA_X1_I0+4+0+0], a[104:107]
 // Ci += Ar*Bi
/*  mfmaIndex:324  */
v_mfma_f32_16x16x4_f32 a[32+0:35+0], v[vgprValuB_X1_I0+2+0+0], v[vgprValuA_X1_I0+4+0+0], a[32:35]
 // Cr += Ar*Br
/*  mfmaIndex:325  */
/* sched write - iter 3 writesPerItem=1 */
s_waitcnt vmcnt(0)                                 // lgkmcnt=-1 vmcnt=0wait for global read before writing to local
_ds_store_b64 v[vgprLocalWriteAddrB], v[vgprG2LB+20:vgprG2LB+20+1] offset:21760 // lwoB_0_0_10_0 = (0*LSCB)*(MT1J+PAD) + (10*LSPB) = 21760
v_mfma_f32_16x16x4_f32 a[128+0:131+0], v[vgprValuB_X1_I0+2+0+0], v[vgprValuA_X1_I0+4+0+0+1], a[128:131]
 // Ci += Ai*Br
/*  mfmaIndex:326  */
_buffer_load_b64 v[vgprG2LB+20:vgprG2LB+20+1], v[vgprGlobalReadOffsetB+0], s[sgprSrdB:sgprSrdB+3], s[sgprScalarGlobalReadOffsetB+9], offen offset:0 // G -> Reg 0_0_10_0
v_mfma_f32_16x16x4_f32 a[32+0:35+0], v[vgprValuB_X1_I0+2+0+0+1], v91, a[32:35]
 // Cr += -Ai*Bi
/*  mfmaIndex:327  */
v_mfma_f32_16x16x4_f32 a[128+0:131+0], v[vgprValuB_X1_I0+2+0+0+1], v[vgprValuA_X1_I0+4+0+0], a[128:131]
 // Ci += Ar*Bi
/*  mfmaIndex:328  */
v_mfma_f32_16x16x4_f32 a[56+0:59+0], v[vgprValuB_X1_I0+4+0+0], v[vgprValuA_X1_I0+4+0+0], a[56:59]
 // Cr += Ar*Br
/*  mfmaIndex:329  */
v_mfma_f32_16x16x4_f32 a[152+0:155+0], v[vgprValuB_X1_I0+4+0+0], v[vgprValuA_X1_I0+4+0+0+1], a[152:155]
 // Ci += Ai*Br
/*  mfmaIndex:330  */
v_mfma_f32_16x16x4_f32 a[56+0:59+0], v[vgprValuB_X1_I0+4+0+0+1], v91, a[56:59]
 // Cr += -Ai*Bi
/*  mfmaIndex:331  */
v_mfma_f32_16x16x4_f32 a[152+0:155+0], v[vgprValuB_X1_I0+4+0+0+1], v[vgprValuA_X1_I0+4+0+0], a[152:155]
 // Ci += Ar*Bi
/*  mfmaIndex:332  */
v_mfma_f32_16x16x4_f32 a[80+0:83+0], v[vgprValuB_X1_I0+6+0+0], v[vgprValuA_X1_I0+4+0+0], a[80:83]
 // Cr += Ar*Br
/*  mfmaIndex:333  */
v_mfma_f32_16x16x4_f32 a[176+0:179+0], v[vgprValuB_X1_I0+6+0+0], v[vgprValuA_X1_I0+4+0+0+1], a[176:179]
 // Ci += Ai*Br
/*  mfmaIndex:334  */
v_mfma_f32_16x16x4_f32 a[80+0:83+0], v[vgprValuB_X1_I0+6+0+0+1], v91, a[80:83]
 // Cr += -Ai*Bi
/*  mfmaIndex:335  */
/* sched write - iter 3 writesPerItem=1 */
s_waitcnt vmcnt(0)                                 // lgkmcnt=-1 vmcnt=0wait for global read before writing to local
_ds_store_b64 v[vgprLocalWriteAddrB], v[vgprG2LB+22:vgprG2LB+22+1] offset:23936 // lwoB_0_0_11_0 = (0*LSCB)*(MT1J+PAD) + (11*LSPB) = 23936
v_mfma_f32_16x16x4_f32 a[176+0:179+0], v[vgprValuB_X1_I0+6+0+0+1], v[vgprValuA_X1_I0+4+0+0], a[176:179]
 // Ci += Ar*Bi
/*  mfmaIndex:336  */
_buffer_load_b64 v[vgprG2LB+22:vgprG2LB+22+1], v[vgprGlobalReadOffsetB+0], s[sgprSrdB:sgprSrdB+3], s[sgprScalarGlobalReadOffsetB+10], offen offset:0 // G -> Reg 0_0_11_0
v_add_f32 v91, -v[vgprValuA_X1_I0+6+0+0+1], 0      // Ai=-Ai
v_mfma_f32_16x16x4_f32 a[12+0:15+0], v[vgprValuB_X1_I0+0+0+0], v[vgprValuA_X1_I0+6+0+0], a[12:15]
 // Cr += Ar*Br
/*  mfmaIndex:337  */
v_mfma_f32_16x16x4_f32 a[108+0:111+0], v[vgprValuB_X1_I0+0+0+0], v[vgprValuA_X1_I0+6+0+0+1], a[108:111]
 // Ci += Ai*Br
/*  mfmaIndex:338  */
v_mfma_f32_16x16x4_f32 a[12+0:15+0], v[vgprValuB_X1_I0+0+0+0+1], v91, a[12:15]
 // Cr += -Ai*Bi
/*  mfmaIndex:339  */
v_mfma_f32_16x16x4_f32 a[108+0:111+0], v[vgprValuB_X1_I0+0+0+0+1], v[vgprValuA_X1_I0+6+0+0], a[108:111]
 // Ci += Ar*Bi
/*  mfmaIndex:340  */
v_mfma_f32_16x16x4_f32 a[36+0:39+0], v[vgprValuB_X1_I0+2+0+0], v[vgprValuA_X1_I0+6+0+0], a[36:39]
 // Cr += Ar*Br
/*  mfmaIndex:341  */
v_mfma_f32_16x16x4_f32 a[132+0:135+0], v[vgprValuB_X1_I0+2+0+0], v[vgprValuA_X1_I0+6+0+0+1], a[132:135]
 // Ci += Ai*Br
/*  mfmaIndex:342  */
v_mfma_f32_16x16x4_f32 a[36+0:39+0], v[vgprValuB_X1_I0+2+0+0+1], v91, a[36:39]
 // Cr += -Ai*Bi
/*  mfmaIndex:343  */
v_mfma_f32_16x16x4_f32 a[132+0:135+0], v[vgprValuB_X1_I0+2+0+0+1], v[vgprValuA_X1_I0+6+0+0], a[132:135]
 // Ci += Ar*Bi
/*  mfmaIndex:344  */
/* sched write - iter 3 writesPerItem=1 */
s_waitcnt vmcnt(0)                                 // lgkmcnt=-1 vmcnt=0wait for global read before writing to local
_ds_store_b64 v[vgprLocalWriteAddrB], v[vgprG2LB+24:vgprG2LB+24+1] offset:26112 // lwoB_0_0_12_0 = (0*LSCB)*(MT1J+PAD) + (12*LSPB) = 26112
v_mfma_f32_16x16x4_f32 a[60+0:63+0], v[vgprValuB_X1_I0+4+0+0], v[vgprValuA_X1_I0+6+0+0], a[60:63]
 // Cr += Ar*Br
/*  mfmaIndex:345  */
_buffer_load_b64 v[vgprG2LB+24:vgprG2LB+24+1], v[vgprGlobalReadOffsetB+0], s[sgprSrdB:sgprSrdB+3], s[sgprScalarGlobalReadOffsetB+11], offen offset:0 // G -> Reg 0_0_12_0
v_mfma_f32_16x16x4_f32 a[156+0:159+0], v[vgprValuB_X1_I0+4+0+0], v[vgprValuA_X1_I0+6+0+0+1], a[156:159]
 // Ci += Ai*Br
/*  mfmaIndex:346  */
v_mfma_f32_16x16x4_f32 a[60+0:63+0], v[vgprValuB_X1_I0+4+0+0+1], v91, a[60:63]
 // Cr += -Ai*Bi
/*  mfmaIndex:347  */
v_mfma_f32_16x16x4_f32 a[156+0:159+0], v[vgprValuB_X1_I0+4+0+0+1], v[vgprValuA_X1_I0+6+0+0], a[156:159]
 // Ci += Ar*Bi
/*  mfmaIndex:348  */
v_mfma_f32_16x16x4_f32 a[84+0:87+0], v[vgprValuB_X1_I0+6+0+0], v[vgprValuA_X1_I0+6+0+0], a[84:87]
 // Cr += Ar*Br
/*  mfmaIndex:349  */
v_mfma_f32_16x16x4_f32 a[180+0:183+0], v[vgprValuB_X1_I0+6+0+0], v[vgprValuA_X1_I0+6+0+0+1], a[180:183]
 // Ci += Ai*Br
/*  mfmaIndex:350  */
v_mfma_f32_16x16x4_f32 a[84+0:87+0], v[vgprValuB_X1_I0+6+0+0+1], v91, a[84:87]
 // Cr += -Ai*Bi
/*  mfmaIndex:351  */
v_mfma_f32_16x16x4_f32 a[180+0:183+0], v[vgprValuB_X1_I0+6+0+0+1], v[vgprValuA_X1_I0+6+0+0], a[180:183]
 // Ci += Ar*Bi
/*  mfmaIndex:352  */
v_add_f32 v91, -v[vgprValuA_X1_I0+8+0+0+1], 0      // Ai=-Ai
v_mfma_f32_16x16x4_f32 a[16+0:19+0], v[vgprValuB_X1_I0+0+0+0], v[vgprValuA_X1_I0+8+0+0], a[16:19]
 // Cr += Ar*Br
/*  mfmaIndex:353  */
v_mfma_f32_16x16x4_f32 a[112+0:115+0], v[vgprValuB_X1_I0+0+0+0], v[vgprValuA_X1_I0+8+0+0+1], a[112:115]
 // Ci += Ai*Br
/*  mfmaIndex:354  */
/* sched write - iter 3 writesPerItem=1 */
s_waitcnt vmcnt(0)                                 // lgkmcnt=-1 vmcnt=0wait for global read before writing to local
_ds_store_b64 v[vgprLocalWriteAddrB], v[vgprG2LB+26:vgprG2LB+26+1] offset:28288 // lwoB_0_0_13_0 = (0*LSCB)*(MT1J+PAD) + (13*LSPB) = 28288
v_mfma_f32_16x16x4_f32 a[16+0:19+0], v[vgprValuB_X1_I0+0+0+0+1], v91, a[16:19]
 // Cr += -Ai*Bi
/*  mfmaIndex:355  */
_buffer_load_b64 v[vgprG2LB+26:vgprG2LB+26+1], v[vgprGlobalReadOffsetB+0], s[sgprSrdB:sgprSrdB+3], s[sgprScalarGlobalReadOffsetB+12], offen offset:0 // G -> Reg 0_0_13_0
v_mfma_f32_16x16x4_f32 a[112+0:115+0], v[vgprValuB_X1_I0+0+0+0+1], v[vgprValuA_X1_I0+8+0+0], a[112:115]
 // Ci += Ar*Bi
/*  mfmaIndex:356  */
v_mfma_f32_16x16x4_f32 a[40+0:43+0], v[vgprValuB_X1_I0+2+0+0], v[vgprValuA_X1_I0+8+0+0], a[40:43]
 // Cr += Ar*Br
/*  mfmaIndex:357  */
v_mfma_f32_16x16x4_f32 a[136+0:139+0], v[vgprValuB_X1_I0+2+0+0], v[vgprValuA_X1_I0+8+0+0+1], a[136:139]
 // Ci += Ai*Br
/*  mfmaIndex:358  */
v_mfma_f32_16x16x4_f32 a[40+0:43+0], v[vgprValuB_X1_I0+2+0+0+1], v91, a[40:43]
 // Cr += -Ai*Bi
/*  mfmaIndex:359  */
v_mfma_f32_16x16x4_f32 a[136+0:139+0], v[vgprValuB_X1_I0+2+0+0+1], v[vgprValuA_X1_I0+8+0+0], a[136:139]
 // Ci += Ar*Bi
/*  mfmaIndex:360  */
v_mfma_f32_16x16x4_f32 a[64+0:67+0], v[vgprValuB_X1_I0+4+0+0], v[vgprValuA_X1_I0+8+0+0], a[64:67]
 // Cr += Ar*Br
/*  mfmaIndex:361  */
v_mfma_f32_16x16x4_f32 a[160+0:163+0], v[vgprValuB_X1_I0+4+0+0], v[vgprValuA_X1_I0+8+0+0+1], a[160:163]
 // Ci += Ai*Br
/*  mfmaIndex:362  */
v_mfma_f32_16x16x4_f32 a[64+0:67+0], v[vgprValuB_X1_I0+4+0+0+1], v91, a[64:67]
 // Cr += -Ai*Bi
/*  mfmaIndex:363  */
/* sched write - iter 3 writesPerItem=1 */
s_waitcnt vmcnt(0)                                 // lgkmcnt=-1 vmcnt=0wait for global read before writing to local
_ds_store_b64 v[vgprLocalWriteAddrB], v[vgprG2LB+28:vgprG2LB+28+1] offset:30464 // lwoB_0_0_14_0 = (0*LSCB)*(MT1J+PAD) + (14*LSPB) = 30464
v_mfma_f32_16x16x4_f32 a[160+0:163+0], v[vgprValuB_X1_I0+4+0+0+1], v[vgprValuA_X1_I0+8+0+0], a[160:163]
 // Ci += Ar*Bi
/*  mfmaIndex:364  */
_buffer_load_b64 v[vgprG2LB+28:vgprG2LB+28+1], v[vgprGlobalReadOffsetB+0], s[sgprSrdB:sgprSrdB+3], s[sgprScalarGlobalReadOffsetB+13], offen offset:0 // G -> Reg 0_0_14_0
v_mfma_f32_16x16x4_f32 a[88+0:91+0], v[vgprValuB_X1_I0+6+0+0], v[vgprValuA_X1_I0+8+0+0], a[88:91]
 // Cr += Ar*Br
/*  mfmaIndex:365  */
v_mfma_f32_16x16x4_f32 a[184+0:187+0], v[vgprValuB_X1_I0+6+0+0], v[vgprValuA_X1_I0+8+0+0+1], a[184:187]
 // Ci += Ai*Br
/*  mfmaIndex:366  */
v_mfma_f32_16x16x4_f32 a[88+0:91+0], v[vgprValuB_X1_I0+6+0+0+1], v91, a[88:91]
 // Cr += -Ai*Bi
/*  mfmaIndex:367  */
v_mfma_f32_16x16x4_f32 a[184+0:187+0], v[vgprValuB_X1_I0+6+0+0+1], v[vgprValuA_X1_I0+8+0+0], a[184:187]
 // Ci += Ar*Bi
/*  mfmaIndex:368  */
v_add_f32 v91, -v[vgprValuA_X1_I0+10+0+0+1], 0     // Ai=-Ai
v_mfma_f32_16x16x4_f32 a[20+0:23+0], v[vgprValuB_X1_I0+0+0+0], v[vgprValuA_X1_I0+10+0+0], a[20:23]
 // Cr += Ar*Br
/*  mfmaIndex:369  */
v_mfma_f32_16x16x4_f32 a[116+0:119+0], v[vgprValuB_X1_I0+0+0+0], v[vgprValuA_X1_I0+10+0+0+1], a[116:119]
 // Ci += Ai*Br
/*  mfmaIndex:370  */
v_mfma_f32_16x16x4_f32 a[20+0:23+0], v[vgprValuB_X1_I0+0+0+0+1], v91, a[20:23]
 // Cr += -Ai*Bi
/*  mfmaIndex:371  */
v_mfma_f32_16x16x4_f32 a[116+0:119+0], v[vgprValuB_X1_I0+0+0+0+1], v[vgprValuA_X1_I0+10+0+0], a[116:119]
 // Ci += Ar*Bi
/*  mfmaIndex:372  */
v_mfma_f32_16x16x4_f32 a[44+0:47+0], v[vgprValuB_X1_I0+2+0+0], v[vgprValuA_X1_I0+10+0+0], a[44:47]
 // Cr += Ar*Br
/*  mfmaIndex:373  */
/* sched write - iter 3 writesPerItem=1 */
s_waitcnt vmcnt(0)                                 // lgkmcnt=-1 vmcnt=0wait for global read before writing to local
_ds_store_b64 v[vgprLocalWriteAddrB], v[vgprG2LB+30:vgprG2LB+30+1] offset:32640 // lwoB_0_0_15_0 = (0*LSCB)*(MT1J+PAD) + (15*LSPB) = 32640
v_mfma_f32_16x16x4_f32 a[140+0:143+0], v[vgprValuB_X1_I0+2+0+0], v[vgprValuA_X1_I0+10+0+0+1], a[140:143]
 // Ci += Ai*Br
/*  mfmaIndex:374  */
_buffer_load_b64 v[vgprG2LB+30:vgprG2LB+30+1], v[vgprGlobalReadOffsetB+0], s[sgprSrdB:sgprSrdB+3], s[sgprScalarGlobalReadOffsetB+14], offen offset:0 // G -> Reg 0_0_15_0

/* local write swap offsets a */

/* local write swap offsets b */
v_mfma_f32_16x16x4_f32 a[44+0:47+0], v[vgprValuB_X1_I0+2+0+0+1], v91, a[44:47]
 // Cr += -Ai*Bi
/*  mfmaIndex:375  */
v_mfma_f32_16x16x4_f32 a[140+0:143+0], v[vgprValuB_X1_I0+2+0+0+1], v[vgprValuA_X1_I0+10+0+0], a[140:143]
 // Ci += Ar*Bi
/*  mfmaIndex:376  */
s_waitcnt lgkmcnt(0)                               // lgkmcnt=0 vmcnt=-13wait for local write
// Skip force waitcnt0
s_barrier //
v_mfma_f32_16x16x4_f32 a[68+0:71+0], v[vgprValuB_X1_I0+4+0+0], v[vgprValuA_X1_I0+10+0+0], a[68:71]
 // Cr += Ar*Br
/*  mfmaIndex:377  */
_ds_load_b64 v[vgprValuA_X0_I0+0:vgprValuA_X0_I0+0+1], v[vgprLocalReadAddrA] offset:0 // L -> Reg lro=0 swapByteOffset=0 ti=32 vIdx=0 rIdx=0 oIdx=0 buffer=0 iui=0
_ds_load_b64 v[vgprValuB_X0_I0+0:vgprValuB_X0_I0+0+1], v[vgprLocalReadAddrB] offset:0 // L -> Reg lro=0 swapByteOffset=0 ti=64 vIdx=0 rIdx=0 oIdx=0 buffer=0 iui=0
v_mfma_f32_16x16x4_f32 a[164+0:167+0], v[vgprValuB_X1_I0+4+0+0], v[vgprValuA_X1_I0+10+0+0+1], a[164:167]
 // Ci += Ai*Br
/*  mfmaIndex:378  */
_ds_load_b64 v[vgprValuA_X0_I0+2:vgprValuA_X0_I0+2+1], v[vgprLocalReadAddrA] offset:8 // L -> Reg lro=0 swapByteOffset=0 ti=32 vIdx=0 rIdx=0 oIdx=0 buffer=0 iui=0
_ds_load_b64 v[vgprValuA_X0_I0+4:vgprValuA_X0_I0+4+1], v[vgprLocalReadAddrA] offset:256 // L -> Reg lro=0 swapByteOffset=0 ti=32 vIdx=1 rIdx=0 oIdx=0 buffer=0 iui=0
v_mfma_f32_16x16x4_f32 a[68+0:71+0], v[vgprValuB_X1_I0+4+0+0+1], v91, a[68:71]
 // Cr += -Ai*Bi
/*  mfmaIndex:379  */
_ds_load_b64 v[vgprValuA_X0_I0+6:vgprValuA_X0_I0+6+1], v[vgprLocalReadAddrA] offset:264 // L -> Reg lro=0 swapByteOffset=0 ti=32 vIdx=1 rIdx=0 oIdx=0 buffer=0 iui=0
_ds_load_b64 v[vgprValuA_X0_I0+8:vgprValuA_X0_I0+8+1], v[vgprLocalReadAddrA] offset:512 // L -> Reg lro=0 swapByteOffset=0 ti=32 vIdx=2 rIdx=0 oIdx=0 buffer=0 iui=0
v_mfma_f32_16x16x4_f32 a[164+0:167+0], v[vgprValuB_X1_I0+4+0+0+1], v[vgprValuA_X1_I0+10+0+0], a[164:167]
 // Ci += Ar*Bi
/*  mfmaIndex:380  */
_ds_load_b64 v[vgprValuA_X0_I0+10:vgprValuA_X0_I0+10+1], v[vgprLocalReadAddrA] offset:520 // L -> Reg lro=0 swapByteOffset=0 ti=32 vIdx=2 rIdx=0 oIdx=0 buffer=0 iui=0
_ds_load_b64 v[vgprValuB_X0_I0+2:vgprValuB_X0_I0+2+1], v[vgprLocalReadAddrB] offset:8704 // L -> Reg lro=0 swapByteOffset=0 ti=64 vIdx=1 rIdx=0 oIdx=0 buffer=0 iui=0
v_mfma_f32_16x16x4_f32 a[92+0:95+0], v[vgprValuB_X1_I0+6+0+0], v[vgprValuA_X1_I0+10+0+0], a[92:95]
 // Cr += Ar*Br
/*  mfmaIndex:381  */
_ds_load_b64 v[vgprValuB_X0_I0+4:vgprValuB_X0_I0+4+1], v[vgprLocalReadAddrB] offset:17408 // L -> Reg lro=0 swapByteOffset=0 ti=64 vIdx=2 rIdx=0 oIdx=0 buffer=0 iui=0
_ds_load_b64 v[vgprValuB_X0_I0+6:vgprValuB_X0_I0+6+1], v[vgprLocalReadAddrB] offset:26112 // L -> Reg lro=0 swapByteOffset=0 ti=64 vIdx=3 rIdx=0 oIdx=0 buffer=0 iui=0
v_mfma_f32_16x16x4_f32 a[188+0:191+0], v[vgprValuB_X1_I0+6+0+0], v[vgprValuA_X1_I0+10+0+0+1], a[188:191]
 // Ci += Ai*Br
/*  mfmaIndex:382  */
v_mfma_f32_16x16x4_f32 a[92+0:95+0], v[vgprValuB_X1_I0+6+0+0+1], v91, a[92:95]
 // Cr += -Ai*Bi
/*  mfmaIndex:383  */
v_mfma_f32_16x16x4_f32 a[188+0:191+0], v[vgprValuB_X1_I0+6+0+0+1], v[vgprValuA_X1_I0+10+0+0], a[188:191]
 // Ci += Ar*Bi
/* numPrefetchIter=1 */
/* dataAtIterA=2 numReadsIterA=3 skipReadsIterA=1 readsPerIterA=6 */
/* dataAtIterB=2 numReadsIterB=3 skipReadsIterB=1 readsPerIterB=4 */


/******************************************/
/* Unrolled Loop - End 1/2                */
/******************************************/


/* closeLoop loopL finalLoop=0 tailLoop=0 */
s_sub_u32 s[sgprLoopCounterL], s[sgprLoopCounterL], 1 // dec counterL
s_cmp_eq_i32 s[sgprLoopCounterL], 0x2              // counterL==2
s_cbranch_scc1 LoopEndL_oddexit_3                  // exit LoopL


/******************************************/
/* Unrolled Loop 2/2 - Begin              */
/******************************************/

label_0016: // LoopCopy2 


/* Begin Each Unroll: Check VGPR.checkin for INT8 LW */


	;; [unrolled: 1-line block ×3, first 2 shown]
/* iter 0 */

/*  grEndMfmaIndex:4, lwStartMfmaIndex:202, lwEndMfmaIndex:374  */
/*  numMfmaForLR:7, barrierMfmaIndex:376, LocalWritePerMfma:0.105 */
/*  mfmaIndex:0  */
s_waitcnt lgkmcnt(0)                               // lgkmcnt=0 vmcnt=-1wait for prior local read local write old=0, new=0 newLW=0 newLR=0
v_add_f32 v91, -v[vgprValuA_X0_I0+0+0+0+1], 0      // Ai=-Ai
v_mfma_f32_16x16x4_f32 a[0+0:3+0], v[vgprValuB_X0_I0+0+0+0], v[vgprValuA_X0_I0+0+0+0], a[0:3]
 // Cr += Ar*Br
/*  mfmaIndex:1  */
_ds_load_b64 v[vgprValuA_X1_I0+0:vgprValuA_X1_I0+0+1], v[vgprLocalReadAddrA] offset:3072 // L -> Reg lro=384 swapByteOffset=0 ti=32 vIdx=0 rIdx=0 oIdx=0 buffer=1 iui=0
_ds_load_b64 v[vgprValuB_X1_I0+0:vgprValuB_X1_I0+0+1], v[vgprLocalReadAddrB] offset:32 // L -> Reg lro=4 swapByteOffset=0 ti=64 vIdx=0 rIdx=0 oIdx=0 buffer=1 iui=0

/* global read inc A loopL */
s_add_u32 s[sgprSrdA+0], s[sgprSrdA+0], s[sgprGlobalReadIncsA+0] // gra SRD += inc(lower)
s_addc_u32  s[sgprSrdA+1], s[sgprSrdA+1], 0        // gra SRD += inc(upper)
s_sub_u32 s[sgprShadowLimitA+0], s[sgprShadowLimitA+0], s[sgprGlobalReadIncsA+0] // limit -= inc)
v_mfma_f32_16x16x4_f32 a[96+0:99+0], v[vgprValuB_X0_I0+0+0+0], v[vgprValuA_X0_I0+0+0+0+1], a[96:99]
 // Ci += Ai*Br
/*  mfmaIndex:2  */
_ds_load_b64 v[vgprValuA_X1_I0+2:vgprValuA_X1_I0+2+1], v[vgprLocalReadAddrA] offset:3080 // L -> Reg lro=384 swapByteOffset=0 ti=32 vIdx=0 rIdx=0 oIdx=0 buffer=1 iui=0
_ds_load_b64 v[vgprValuA_X1_I0+4:vgprValuA_X1_I0+4+1], v[vgprLocalReadAddrA] offset:3328 // L -> Reg lro=384 swapByteOffset=0 ti=32 vIdx=1 rIdx=0 oIdx=0 buffer=1 iui=0
s_subb_u32 s[sgprShadowLimitA+1], s[sgprShadowLimitA+1], 0 // limit -= inc)
s_cmp_eq_u32 s[sgprShadowLimitA+1], 0              // are we within 2^32?
s_cmov_b32 s[sgprSrdA+2], s[sgprShadowLimitA+0]    // Move shadow to real if we are within 2^32
v_mfma_f32_16x16x4_f32 a[0+0:3+0], v[vgprValuB_X0_I0+0+0+0+1], v91, a[0:3]
 // Cr += -Ai*Bi
/*  mfmaIndex:3  */
_ds_load_b64 v[vgprValuA_X1_I0+6:vgprValuA_X1_I0+6+1], v[vgprLocalReadAddrA] offset:3336 // L -> Reg lro=384 swapByteOffset=0 ti=32 vIdx=1 rIdx=0 oIdx=0 buffer=1 iui=0
_ds_load_b64 v[vgprValuA_X1_I0+8:vgprValuA_X1_I0+8+1], v[vgprLocalReadAddrA] offset:3584 // L -> Reg lro=384 swapByteOffset=0 ti=32 vIdx=2 rIdx=0 oIdx=0 buffer=1 iui=0

/* global read inc B loopL */
s_add_u32 s[sgprSrdB+0], s[sgprSrdB+0], s[sgprGlobalReadIncsB+0] // gra SRD += inc(lower)
s_addc_u32  s[sgprSrdB+1], s[sgprSrdB+1], 0        // gra SRD += inc(upper)
s_sub_u32 s[sgprShadowLimitB+0], s[sgprShadowLimitB+0], s[sgprGlobalReadIncsB+0] // limit -= inc)
v_mfma_f32_16x16x4_f32 a[96+0:99+0], v[vgprValuB_X0_I0+0+0+0+1], v[vgprValuA_X0_I0+0+0+0], a[96:99]
 // Ci += Ar*Bi
/*  mfmaIndex:4  */
_ds_load_b64 v[vgprValuA_X1_I0+10:vgprValuA_X1_I0+10+1], v[vgprLocalReadAddrA] offset:3592 // L -> Reg lro=384 swapByteOffset=0 ti=32 vIdx=2 rIdx=0 oIdx=0 buffer=1 iui=0
_ds_load_b64 v[vgprValuB_X1_I0+2:vgprValuB_X1_I0+2+1], v[vgprLocalReadAddrB] offset:8736 // L -> Reg lro=4 swapByteOffset=0 ti=64 vIdx=1 rIdx=0 oIdx=0 buffer=1 iui=0
s_subb_u32 s[sgprShadowLimitB+1], s[sgprShadowLimitB+1], 0 // limit -= inc)
s_cmp_eq_u32 s[sgprShadowLimitB+1], 0              // are we within 2^32?
s_cmov_b32 s[sgprSrdB+2], s[sgprShadowLimitB+0]    // Move shadow to real if we are within 2^32
v_mfma_f32_16x16x4_f32 a[24+0:27+0], v[vgprValuB_X0_I0+2+0+0], v[vgprValuA_X0_I0+0+0+0], a[24:27]
 // Cr += Ar*Br
/*  mfmaIndex:5  */
_ds_load_b64 v[vgprValuB_X1_I0+4:vgprValuB_X1_I0+4+1], v[vgprLocalReadAddrB] offset:17440 // L -> Reg lro=4 swapByteOffset=0 ti=64 vIdx=2 rIdx=0 oIdx=0 buffer=1 iui=0
_ds_load_b64 v[vgprValuB_X1_I0+6:vgprValuB_X1_I0+6+1], v[vgprLocalReadAddrB] offset:26144 // L -> Reg lro=4 swapByteOffset=0 ti=64 vIdx=3 rIdx=0 oIdx=0 buffer=1 iui=0
/* localReadsVacancy: latencyLeft 1 */
v_mfma_f32_16x16x4_f32 a[120+0:123+0], v[vgprValuB_X0_I0+2+0+0], v[vgprValuA_X0_I0+0+0+0+1], a[120:123]
 // Ci += Ai*Br
/*  mfmaIndex:6  */
/* localReadsVacancy: latencyLeft 5 */
v_mfma_f32_16x16x4_f32 a[24+0:27+0], v[vgprValuB_X0_I0+2+0+0+1], v91, a[24:27]
 // Cr += -Ai*Bi
/*  mfmaIndex:7  */
/* localReadsVacancy: latencyLeft 5 */
v_mfma_f32_16x16x4_f32 a[120+0:123+0], v[vgprValuB_X0_I0+2+0+0+1], v[vgprValuA_X0_I0+0+0+0], a[120:123]
 // Ci += Ar*Bi
/*  mfmaIndex:8  */
/* localReadsVacancy: latencyLeft 5 */
v_mfma_f32_16x16x4_f32 a[48+0:51+0], v[vgprValuB_X0_I0+4+0+0], v[vgprValuA_X0_I0+0+0+0], a[48:51]
 // Cr += Ar*Br
/*  mfmaIndex:9  */
/* localReadsVacancy: latencyLeft 5 */
v_mfma_f32_16x16x4_f32 a[144+0:147+0], v[vgprValuB_X0_I0+4+0+0], v[vgprValuA_X0_I0+0+0+0+1], a[144:147]
 // Ci += Ai*Br
/*  mfmaIndex:10  */
/* localReadsVacancy: latencyLeft 5 */
v_mfma_f32_16x16x4_f32 a[48+0:51+0], v[vgprValuB_X0_I0+4+0+0+1], v91, a[48:51]
 // Cr += -Ai*Bi
/*  mfmaIndex:11  */
/* localReadsVacancy: latencyLeft 5 */
v_mfma_f32_16x16x4_f32 a[144+0:147+0], v[vgprValuB_X0_I0+4+0+0+1], v[vgprValuA_X0_I0+0+0+0], a[144:147]
 // Ci += Ar*Bi
/*  mfmaIndex:12  */
/* localReadsVacancy: latencyLeft 5 */
v_mfma_f32_16x16x4_f32 a[72+0:75+0], v[vgprValuB_X0_I0+6+0+0], v[vgprValuA_X0_I0+0+0+0], a[72:75]
 // Cr += Ar*Br
/*  mfmaIndex:13  */
/* localReadsVacancy: latencyLeft 5 */
v_mfma_f32_16x16x4_f32 a[168+0:171+0], v[vgprValuB_X0_I0+6+0+0], v[vgprValuA_X0_I0+0+0+0+1], a[168:171]
 // Ci += Ai*Br
/*  mfmaIndex:14  */
/* localReadsVacancy: latencyLeft 5 */
v_mfma_f32_16x16x4_f32 a[72+0:75+0], v[vgprValuB_X0_I0+6+0+0+1], v91, a[72:75]
 // Cr += -Ai*Bi
/*  mfmaIndex:15  */
/* localReadsVacancy: latencyLeft 5 */
v_mfma_f32_16x16x4_f32 a[168+0:171+0], v[vgprValuB_X0_I0+6+0+0+1], v[vgprValuA_X0_I0+0+0+0], a[168:171]
 // Ci += Ar*Bi
/*  mfmaIndex:16  */
/* localReadsVacancy: latencyLeft 5 */
v_add_f32 v91, -v[vgprValuA_X0_I0+2+0+0+1], 0      // Ai=-Ai
v_mfma_f32_16x16x4_f32 a[4+0:7+0], v[vgprValuB_X0_I0+0+0+0], v[vgprValuA_X0_I0+2+0+0], a[4:7]
 // Cr += Ar*Br
/*  mfmaIndex:17  */
/* localReadsVacancy: latencyLeft 5 */
v_mfma_f32_16x16x4_f32 a[100+0:103+0], v[vgprValuB_X0_I0+0+0+0], v[vgprValuA_X0_I0+2+0+0+1], a[100:103]
 // Ci += Ai*Br
/*  mfmaIndex:18  */
/* localReadsVacancy: latencyLeft 5 */
v_mfma_f32_16x16x4_f32 a[4+0:7+0], v[vgprValuB_X0_I0+0+0+0+1], v91, a[4:7]
 // Cr += -Ai*Bi
/*  mfmaIndex:19  */
/* localReadsVacancy: latencyLeft 5 */
v_mfma_f32_16x16x4_f32 a[100+0:103+0], v[vgprValuB_X0_I0+0+0+0+1], v[vgprValuA_X0_I0+2+0+0], a[100:103]
 // Ci += Ar*Bi
/*  mfmaIndex:20  */
/* localReadsVacancy: latencyLeft 5 */
v_mfma_f32_16x16x4_f32 a[28+0:31+0], v[vgprValuB_X0_I0+2+0+0], v[vgprValuA_X0_I0+2+0+0], a[28:31]
 // Cr += Ar*Br
/*  mfmaIndex:21  */
/* localReadsVacancy: latencyLeft 5 */
v_mfma_f32_16x16x4_f32 a[124+0:127+0], v[vgprValuB_X0_I0+2+0+0], v[vgprValuA_X0_I0+2+0+0+1], a[124:127]
 // Ci += Ai*Br
/*  mfmaIndex:22  */
/* localReadsVacancy: latencyLeft 5 */
v_mfma_f32_16x16x4_f32 a[28+0:31+0], v[vgprValuB_X0_I0+2+0+0+1], v91, a[28:31]
 // Cr += -Ai*Bi
/*  mfmaIndex:23  */
/* localReadsVacancy: latencyLeft 5 */
v_mfma_f32_16x16x4_f32 a[124+0:127+0], v[vgprValuB_X0_I0+2+0+0+1], v[vgprValuA_X0_I0+2+0+0], a[124:127]
 // Ci += Ar*Bi
/*  mfmaIndex:24  */
/* localReadsVacancy: latencyLeft 5 */
	;; [unrolled: 16-line block ×4, first 2 shown]
v_add_f32 v91, -v[vgprValuA_X0_I0+4+0+0+1], 0      // Ai=-Ai
v_mfma_f32_16x16x4_f32 a[8+0:11+0], v[vgprValuB_X0_I0+0+0+0], v[vgprValuA_X0_I0+4+0+0], a[8:11]
 // Cr += Ar*Br
/*  mfmaIndex:33  */
/* localReadsVacancy: latencyLeft 5 */
v_mfma_f32_16x16x4_f32 a[104+0:107+0], v[vgprValuB_X0_I0+0+0+0], v[vgprValuA_X0_I0+4+0+0+1], a[104:107]
 // Ci += Ai*Br
/*  mfmaIndex:34  */
/* localReadsVacancy: latencyLeft 5 */
v_mfma_f32_16x16x4_f32 a[8+0:11+0], v[vgprValuB_X0_I0+0+0+0+1], v91, a[8:11]
 // Cr += -Ai*Bi
/*  mfmaIndex:35  */
/* localReadsVacancy: latencyLeft 5 */
v_mfma_f32_16x16x4_f32 a[104+0:107+0], v[vgprValuB_X0_I0+0+0+0+1], v[vgprValuA_X0_I0+4+0+0], a[104:107]
 // Ci += Ar*Bi
/*  mfmaIndex:36  */
/* localReadsVacancy: latencyLeft 5 */
v_mfma_f32_16x16x4_f32 a[32+0:35+0], v[vgprValuB_X0_I0+2+0+0], v[vgprValuA_X0_I0+4+0+0], a[32:35]
 // Cr += Ar*Br
/*  mfmaIndex:37  */
/* localReadsVacancy: latencyLeft 5 */
v_mfma_f32_16x16x4_f32 a[128+0:131+0], v[vgprValuB_X0_I0+2+0+0], v[vgprValuA_X0_I0+4+0+0+1], a[128:131]
 // Ci += Ai*Br
/*  mfmaIndex:38  */
/* localReadsVacancy: latencyLeft 5 */
v_mfma_f32_16x16x4_f32 a[32+0:35+0], v[vgprValuB_X0_I0+2+0+0+1], v91, a[32:35]
 // Cr += -Ai*Bi
/*  mfmaIndex:39  */
/* localReadsVacancy: latencyLeft 5 */
v_mfma_f32_16x16x4_f32 a[128+0:131+0], v[vgprValuB_X0_I0+2+0+0+1], v[vgprValuA_X0_I0+4+0+0], a[128:131]
 // Ci += Ar*Bi
/*  mfmaIndex:40  */
/* localReadsVacancy: latencyLeft 5 */
	;; [unrolled: 16-line block ×4, first 2 shown]
v_add_f32 v91, -v[vgprValuA_X0_I0+6+0+0+1], 0      // Ai=-Ai
v_mfma_f32_16x16x4_f32 a[12+0:15+0], v[vgprValuB_X0_I0+0+0+0], v[vgprValuA_X0_I0+6+0+0], a[12:15]
 // Cr += Ar*Br
/*  mfmaIndex:49  */
/* localReadsVacancy: latencyLeft 5 */
v_mfma_f32_16x16x4_f32 a[108+0:111+0], v[vgprValuB_X0_I0+0+0+0], v[vgprValuA_X0_I0+6+0+0+1], a[108:111]
 // Ci += Ai*Br
/*  mfmaIndex:50  */
/* localReadsVacancy: latencyLeft 5 */
v_mfma_f32_16x16x4_f32 a[12+0:15+0], v[vgprValuB_X0_I0+0+0+0+1], v91, a[12:15]
 // Cr += -Ai*Bi
/*  mfmaIndex:51  */
/* localReadsVacancy: latencyLeft 5 */
v_mfma_f32_16x16x4_f32 a[108+0:111+0], v[vgprValuB_X0_I0+0+0+0+1], v[vgprValuA_X0_I0+6+0+0], a[108:111]
 // Ci += Ar*Bi
/*  mfmaIndex:52  */
/* localReadsVacancy: latencyLeft 5 */
v_mfma_f32_16x16x4_f32 a[36+0:39+0], v[vgprValuB_X0_I0+2+0+0], v[vgprValuA_X0_I0+6+0+0], a[36:39]
 // Cr += Ar*Br
/*  mfmaIndex:53  */
/* localReadsVacancy: latencyLeft 5 */
v_mfma_f32_16x16x4_f32 a[132+0:135+0], v[vgprValuB_X0_I0+2+0+0], v[vgprValuA_X0_I0+6+0+0+1], a[132:135]
 // Ci += Ai*Br
/*  mfmaIndex:54  */
/* localReadsVacancy: latencyLeft 5 */
v_mfma_f32_16x16x4_f32 a[36+0:39+0], v[vgprValuB_X0_I0+2+0+0+1], v91, a[36:39]
 // Cr += -Ai*Bi
/*  mfmaIndex:55  */
/* localReadsVacancy: latencyLeft 5 */
v_mfma_f32_16x16x4_f32 a[132+0:135+0], v[vgprValuB_X0_I0+2+0+0+1], v[vgprValuA_X0_I0+6+0+0], a[132:135]
 // Ci += Ar*Bi
/*  mfmaIndex:56  */
/* localReadsVacancy: latencyLeft 5 */
	;; [unrolled: 16-line block ×4, first 2 shown]
v_add_f32 v91, -v[vgprValuA_X0_I0+8+0+0+1], 0      // Ai=-Ai
v_mfma_f32_16x16x4_f32 a[16+0:19+0], v[vgprValuB_X0_I0+0+0+0], v[vgprValuA_X0_I0+8+0+0], a[16:19]
 // Cr += Ar*Br
/*  mfmaIndex:65  */
/* localReadsVacancy: latencyLeft 5 */
v_mfma_f32_16x16x4_f32 a[112+0:115+0], v[vgprValuB_X0_I0+0+0+0], v[vgprValuA_X0_I0+8+0+0+1], a[112:115]
 // Ci += Ai*Br
/*  mfmaIndex:66  */
/* localReadsVacancy: latencyLeft 5 */
v_mfma_f32_16x16x4_f32 a[16+0:19+0], v[vgprValuB_X0_I0+0+0+0+1], v91, a[16:19]
 // Cr += -Ai*Bi
/*  mfmaIndex:67  */
/* localReadsVacancy: latencyLeft 5 */
v_mfma_f32_16x16x4_f32 a[112+0:115+0], v[vgprValuB_X0_I0+0+0+0+1], v[vgprValuA_X0_I0+8+0+0], a[112:115]
 // Ci += Ar*Bi
/*  mfmaIndex:68  */
/* localReadsVacancy: latencyLeft 5 */
v_mfma_f32_16x16x4_f32 a[40+0:43+0], v[vgprValuB_X0_I0+2+0+0], v[vgprValuA_X0_I0+8+0+0], a[40:43]
 // Cr += Ar*Br
/*  mfmaIndex:69  */
/* localReadsVacancy: latencyLeft 5 */
v_mfma_f32_16x16x4_f32 a[136+0:139+0], v[vgprValuB_X0_I0+2+0+0], v[vgprValuA_X0_I0+8+0+0+1], a[136:139]
 // Ci += Ai*Br
/*  mfmaIndex:70  */
/* localReadsVacancy: latencyLeft 5 */
v_mfma_f32_16x16x4_f32 a[40+0:43+0], v[vgprValuB_X0_I0+2+0+0+1], v91, a[40:43]
 // Cr += -Ai*Bi
/*  mfmaIndex:71  */
/* localReadsVacancy: latencyLeft 5 */
v_mfma_f32_16x16x4_f32 a[136+0:139+0], v[vgprValuB_X0_I0+2+0+0+1], v[vgprValuA_X0_I0+8+0+0], a[136:139]
 // Ci += Ar*Bi
/*  mfmaIndex:72  */
/* localReadsVacancy: latencyLeft 5 */
	;; [unrolled: 16-line block ×4, first 2 shown]
v_add_f32 v91, -v[vgprValuA_X0_I0+10+0+0+1], 0     // Ai=-Ai
v_mfma_f32_16x16x4_f32 a[20+0:23+0], v[vgprValuB_X0_I0+0+0+0], v[vgprValuA_X0_I0+10+0+0], a[20:23]
 // Cr += Ar*Br
/*  mfmaIndex:81  */
/* localReadsVacancy: latencyLeft 5 */
v_mfma_f32_16x16x4_f32 a[116+0:119+0], v[vgprValuB_X0_I0+0+0+0], v[vgprValuA_X0_I0+10+0+0+1], a[116:119]
 // Ci += Ai*Br
/*  mfmaIndex:82  */
/* localReadsVacancy: latencyLeft 5 */
v_mfma_f32_16x16x4_f32 a[20+0:23+0], v[vgprValuB_X0_I0+0+0+0+1], v91, a[20:23]
 // Cr += -Ai*Bi
/*  mfmaIndex:83  */
/* localReadsVacancy: latencyLeft 5 */
v_mfma_f32_16x16x4_f32 a[116+0:119+0], v[vgprValuB_X0_I0+0+0+0+1], v[vgprValuA_X0_I0+10+0+0], a[116:119]
 // Ci += Ar*Bi
/*  mfmaIndex:84  */
/* localReadsVacancy: latencyLeft 5 */
v_mfma_f32_16x16x4_f32 a[44+0:47+0], v[vgprValuB_X0_I0+2+0+0], v[vgprValuA_X0_I0+10+0+0], a[44:47]
 // Cr += Ar*Br
/*  mfmaIndex:85  */
/* localReadsVacancy: latencyLeft 5 */
v_mfma_f32_16x16x4_f32 a[140+0:143+0], v[vgprValuB_X0_I0+2+0+0], v[vgprValuA_X0_I0+10+0+0+1], a[140:143]
 // Ci += Ai*Br
/*  mfmaIndex:86  */
/* localReadsVacancy: latencyLeft 5 */
v_mfma_f32_16x16x4_f32 a[44+0:47+0], v[vgprValuB_X0_I0+2+0+0+1], v91, a[44:47]
 // Cr += -Ai*Bi
/*  mfmaIndex:87  */
/* localReadsVacancy: latencyLeft 5 */
v_mfma_f32_16x16x4_f32 a[140+0:143+0], v[vgprValuB_X0_I0+2+0+0+1], v[vgprValuA_X0_I0+10+0+0], a[140:143]
 // Ci += Ar*Bi
/*  mfmaIndex:88  */
/* localReadsVacancy: latencyLeft 5 */
	;; [unrolled: 16-line block ×3, first 2 shown]
v_mfma_f32_16x16x4_f32 a[92+0:95+0], v[vgprValuB_X0_I0+6+0+0], v[vgprValuA_X0_I0+10+0+0], a[92:95]
 // Cr += Ar*Br
/*  mfmaIndex:93  */
/* localReadsVacancy: latencyLeft 5 */
v_mfma_f32_16x16x4_f32 a[188+0:191+0], v[vgprValuB_X0_I0+6+0+0], v[vgprValuA_X0_I0+10+0+0+1], a[188:191]
 // Ci += Ai*Br
/*  mfmaIndex:94  */
/* localReadsVacancy: latencyLeft 5 */
v_mfma_f32_16x16x4_f32 a[92+0:95+0], v[vgprValuB_X0_I0+6+0+0+1], v91, a[92:95]
 // Cr += -Ai*Bi
/*  mfmaIndex:95  */
/* localReadsVacancy: latencyLeft 5 */
v_mfma_f32_16x16x4_f32 a[188+0:191+0], v[vgprValuB_X0_I0+6+0+0+1], v[vgprValuA_X0_I0+10+0+0], a[188:191]
 // Ci += Ar*Bi
/* numPrefetchIter=0 */
/* dataAtIterA=-1 numReadsIterA=1 skipReadsIterA=1 readsPerIterA=6 */
/* dataAtIterB=-1 numReadsIterB=1 skipReadsIterB=1 readsPerIterB=4 */


/* iter 1 */

/*  grEndMfmaIndex:4, lwStartMfmaIndex:202, lwEndMfmaIndex:374  */
/*  numMfmaForLR:7, barrierMfmaIndex:376, LocalWritePerMfma:0.105 */
/*  mfmaIndex:96  */
_ds_load_b64 v[vgprValuA_X0_I0+0:vgprValuA_X0_I0+0+1], v[vgprLocalReadAddrA] offset:6144 // L -> Reg lro=768 swapByteOffset=0 ti=32 vIdx=0 rIdx=0 oIdx=0 buffer=0 iui=0
_ds_load_b64 v[vgprValuB_X0_I0+0:vgprValuB_X0_I0+0+1], v[vgprLocalReadAddrB] offset:64 // L -> Reg lro=8 swapByteOffset=0 ti=64 vIdx=0 rIdx=0 oIdx=0 buffer=0 iui=0
s_waitcnt lgkmcnt(2)                               // lgkmcnt=0 vmcnt=-1wait for prior local read local write old=0, new=2 newLW=0 newLR=2
v_add_f32 v91, -v[vgprValuA_X1_I0+0+0+0+1], 0      // Ai=-Ai
v_mfma_f32_16x16x4_f32 a[0+0:3+0], v[vgprValuB_X1_I0+0+0+0], v[vgprValuA_X1_I0+0+0+0], a[0:3]
 // Cr += Ar*Br
/*  mfmaIndex:97  */
_ds_load_b64 v[vgprValuA_X0_I0+2:vgprValuA_X0_I0+2+1], v[vgprLocalReadAddrA] offset:6152 // L -> Reg lro=768 swapByteOffset=0 ti=32 vIdx=0 rIdx=0 oIdx=0 buffer=0 iui=0
_ds_load_b64 v[vgprValuA_X0_I0+4:vgprValuA_X0_I0+4+1], v[vgprLocalReadAddrA] offset:6400 // L -> Reg lro=768 swapByteOffset=0 ti=32 vIdx=1 rIdx=0 oIdx=0 buffer=0 iui=0
v_mfma_f32_16x16x4_f32 a[96+0:99+0], v[vgprValuB_X1_I0+0+0+0], v[vgprValuA_X1_I0+0+0+0+1], a[96:99]
 // Ci += Ai*Br
/*  mfmaIndex:98  */
_ds_load_b64 v[vgprValuA_X0_I0+6:vgprValuA_X0_I0+6+1], v[vgprLocalReadAddrA] offset:6408 // L -> Reg lro=768 swapByteOffset=0 ti=32 vIdx=1 rIdx=0 oIdx=0 buffer=0 iui=0
_ds_load_b64 v[vgprValuA_X0_I0+8:vgprValuA_X0_I0+8+1], v[vgprLocalReadAddrA] offset:6656 // L -> Reg lro=768 swapByteOffset=0 ti=32 vIdx=2 rIdx=0 oIdx=0 buffer=0 iui=0
v_mfma_f32_16x16x4_f32 a[0+0:3+0], v[vgprValuB_X1_I0+0+0+0+1], v91, a[0:3]
 // Cr += -Ai*Bi
/*  mfmaIndex:99  */
_ds_load_b64 v[vgprValuA_X0_I0+10:vgprValuA_X0_I0+10+1], v[vgprLocalReadAddrA] offset:6664 // L -> Reg lro=768 swapByteOffset=0 ti=32 vIdx=2 rIdx=0 oIdx=0 buffer=0 iui=0
_ds_load_b64 v[vgprValuB_X0_I0+2:vgprValuB_X0_I0+2+1], v[vgprLocalReadAddrB] offset:8768 // L -> Reg lro=8 swapByteOffset=0 ti=64 vIdx=1 rIdx=0 oIdx=0 buffer=0 iui=0
v_mfma_f32_16x16x4_f32 a[96+0:99+0], v[vgprValuB_X1_I0+0+0+0+1], v[vgprValuA_X1_I0+0+0+0], a[96:99]
 // Ci += Ar*Bi
/*  mfmaIndex:100  */
_ds_load_b64 v[vgprValuB_X0_I0+4:vgprValuB_X0_I0+4+1], v[vgprLocalReadAddrB] offset:17472 // L -> Reg lro=8 swapByteOffset=0 ti=64 vIdx=2 rIdx=0 oIdx=0 buffer=0 iui=0
_ds_load_b64 v[vgprValuB_X0_I0+6:vgprValuB_X0_I0+6+1], v[vgprLocalReadAddrB] offset:26176 // L -> Reg lro=8 swapByteOffset=0 ti=64 vIdx=3 rIdx=0 oIdx=0 buffer=0 iui=0
/* localReadsVacancy: latencyLeft 1 */
v_mfma_f32_16x16x4_f32 a[24+0:27+0], v[vgprValuB_X1_I0+2+0+0], v[vgprValuA_X1_I0+0+0+0], a[24:27]
 // Cr += Ar*Br
/*  mfmaIndex:101  */
/* localReadsVacancy: latencyLeft 5 */
v_mfma_f32_16x16x4_f32 a[120+0:123+0], v[vgprValuB_X1_I0+2+0+0], v[vgprValuA_X1_I0+0+0+0+1], a[120:123]
 // Ci += Ai*Br
/*  mfmaIndex:102  */
/* localReadsVacancy: latencyLeft 5 */
v_mfma_f32_16x16x4_f32 a[24+0:27+0], v[vgprValuB_X1_I0+2+0+0+1], v91, a[24:27]
 // Cr += -Ai*Bi
/*  mfmaIndex:103  */
/* localReadsVacancy: latencyLeft 5 */
v_mfma_f32_16x16x4_f32 a[120+0:123+0], v[vgprValuB_X1_I0+2+0+0+1], v[vgprValuA_X1_I0+0+0+0], a[120:123]
 // Ci += Ar*Bi
/*  mfmaIndex:104  */
/* localReadsVacancy: latencyLeft 5 */
v_mfma_f32_16x16x4_f32 a[48+0:51+0], v[vgprValuB_X1_I0+4+0+0], v[vgprValuA_X1_I0+0+0+0], a[48:51]
 // Cr += Ar*Br
/*  mfmaIndex:105  */
/* localReadsVacancy: latencyLeft 5 */
v_mfma_f32_16x16x4_f32 a[144+0:147+0], v[vgprValuB_X1_I0+4+0+0], v[vgprValuA_X1_I0+0+0+0+1], a[144:147]
 // Ci += Ai*Br
/*  mfmaIndex:106  */
/* localReadsVacancy: latencyLeft 5 */
v_mfma_f32_16x16x4_f32 a[48+0:51+0], v[vgprValuB_X1_I0+4+0+0+1], v91, a[48:51]
 // Cr += -Ai*Bi
/*  mfmaIndex:107  */
/* localReadsVacancy: latencyLeft 5 */
v_mfma_f32_16x16x4_f32 a[144+0:147+0], v[vgprValuB_X1_I0+4+0+0+1], v[vgprValuA_X1_I0+0+0+0], a[144:147]
 // Ci += Ar*Bi
/*  mfmaIndex:108  */
	;; [unrolled: 16-line block ×3, first 2 shown]
/* localReadsVacancy: latencyLeft 5 */
v_add_f32 v91, -v[vgprValuA_X1_I0+2+0+0+1], 0      // Ai=-Ai
v_mfma_f32_16x16x4_f32 a[4+0:7+0], v[vgprValuB_X1_I0+0+0+0], v[vgprValuA_X1_I0+2+0+0], a[4:7]
 // Cr += Ar*Br
/*  mfmaIndex:113  */
/* localReadsVacancy: latencyLeft 5 */
v_mfma_f32_16x16x4_f32 a[100+0:103+0], v[vgprValuB_X1_I0+0+0+0], v[vgprValuA_X1_I0+2+0+0+1], a[100:103]
 // Ci += Ai*Br
/*  mfmaIndex:114  */
/* localReadsVacancy: latencyLeft 5 */
v_mfma_f32_16x16x4_f32 a[4+0:7+0], v[vgprValuB_X1_I0+0+0+0+1], v91, a[4:7]
 // Cr += -Ai*Bi
/*  mfmaIndex:115  */
/* localReadsVacancy: latencyLeft 5 */
v_mfma_f32_16x16x4_f32 a[100+0:103+0], v[vgprValuB_X1_I0+0+0+0+1], v[vgprValuA_X1_I0+2+0+0], a[100:103]
 // Ci += Ar*Bi
/*  mfmaIndex:116  */
/* localReadsVacancy: latencyLeft 5 */
v_mfma_f32_16x16x4_f32 a[28+0:31+0], v[vgprValuB_X1_I0+2+0+0], v[vgprValuA_X1_I0+2+0+0], a[28:31]
 // Cr += Ar*Br
/*  mfmaIndex:117  */
/* localReadsVacancy: latencyLeft 5 */
v_mfma_f32_16x16x4_f32 a[124+0:127+0], v[vgprValuB_X1_I0+2+0+0], v[vgprValuA_X1_I0+2+0+0+1], a[124:127]
 // Ci += Ai*Br
/*  mfmaIndex:118  */
/* localReadsVacancy: latencyLeft 5 */
v_mfma_f32_16x16x4_f32 a[28+0:31+0], v[vgprValuB_X1_I0+2+0+0+1], v91, a[28:31]
 // Cr += -Ai*Bi
/*  mfmaIndex:119  */
/* localReadsVacancy: latencyLeft 5 */
v_mfma_f32_16x16x4_f32 a[124+0:127+0], v[vgprValuB_X1_I0+2+0+0+1], v[vgprValuA_X1_I0+2+0+0], a[124:127]
 // Ci += Ar*Bi
/*  mfmaIndex:120  */
/* localReadsVacancy: latencyLeft 5 */
	;; [unrolled: 16-line block ×4, first 2 shown]
v_add_f32 v91, -v[vgprValuA_X1_I0+4+0+0+1], 0      // Ai=-Ai
v_mfma_f32_16x16x4_f32 a[8+0:11+0], v[vgprValuB_X1_I0+0+0+0], v[vgprValuA_X1_I0+4+0+0], a[8:11]
 // Cr += Ar*Br
/*  mfmaIndex:129  */
/* localReadsVacancy: latencyLeft 5 */
v_mfma_f32_16x16x4_f32 a[104+0:107+0], v[vgprValuB_X1_I0+0+0+0], v[vgprValuA_X1_I0+4+0+0+1], a[104:107]
 // Ci += Ai*Br
/*  mfmaIndex:130  */
/* localReadsVacancy: latencyLeft 5 */
v_mfma_f32_16x16x4_f32 a[8+0:11+0], v[vgprValuB_X1_I0+0+0+0+1], v91, a[8:11]
 // Cr += -Ai*Bi
/*  mfmaIndex:131  */
/* localReadsVacancy: latencyLeft 5 */
v_mfma_f32_16x16x4_f32 a[104+0:107+0], v[vgprValuB_X1_I0+0+0+0+1], v[vgprValuA_X1_I0+4+0+0], a[104:107]
 // Ci += Ar*Bi
/*  mfmaIndex:132  */
/* localReadsVacancy: latencyLeft 5 */
v_mfma_f32_16x16x4_f32 a[32+0:35+0], v[vgprValuB_X1_I0+2+0+0], v[vgprValuA_X1_I0+4+0+0], a[32:35]
 // Cr += Ar*Br
/*  mfmaIndex:133  */
/* localReadsVacancy: latencyLeft 5 */
v_mfma_f32_16x16x4_f32 a[128+0:131+0], v[vgprValuB_X1_I0+2+0+0], v[vgprValuA_X1_I0+4+0+0+1], a[128:131]
 // Ci += Ai*Br
/*  mfmaIndex:134  */
/* localReadsVacancy: latencyLeft 5 */
v_mfma_f32_16x16x4_f32 a[32+0:35+0], v[vgprValuB_X1_I0+2+0+0+1], v91, a[32:35]
 // Cr += -Ai*Bi
/*  mfmaIndex:135  */
/* localReadsVacancy: latencyLeft 5 */
v_mfma_f32_16x16x4_f32 a[128+0:131+0], v[vgprValuB_X1_I0+2+0+0+1], v[vgprValuA_X1_I0+4+0+0], a[128:131]
 // Ci += Ar*Bi
/*  mfmaIndex:136  */
/* localReadsVacancy: latencyLeft 5 */
	;; [unrolled: 16-line block ×4, first 2 shown]
v_add_f32 v91, -v[vgprValuA_X1_I0+6+0+0+1], 0      // Ai=-Ai
v_mfma_f32_16x16x4_f32 a[12+0:15+0], v[vgprValuB_X1_I0+0+0+0], v[vgprValuA_X1_I0+6+0+0], a[12:15]
 // Cr += Ar*Br
/*  mfmaIndex:145  */
/* localReadsVacancy: latencyLeft 5 */
v_mfma_f32_16x16x4_f32 a[108+0:111+0], v[vgprValuB_X1_I0+0+0+0], v[vgprValuA_X1_I0+6+0+0+1], a[108:111]
 // Ci += Ai*Br
/*  mfmaIndex:146  */
/* localReadsVacancy: latencyLeft 5 */
v_mfma_f32_16x16x4_f32 a[12+0:15+0], v[vgprValuB_X1_I0+0+0+0+1], v91, a[12:15]
 // Cr += -Ai*Bi
/*  mfmaIndex:147  */
/* localReadsVacancy: latencyLeft 5 */
v_mfma_f32_16x16x4_f32 a[108+0:111+0], v[vgprValuB_X1_I0+0+0+0+1], v[vgprValuA_X1_I0+6+0+0], a[108:111]
 // Ci += Ar*Bi
/*  mfmaIndex:148  */
/* localReadsVacancy: latencyLeft 5 */
v_mfma_f32_16x16x4_f32 a[36+0:39+0], v[vgprValuB_X1_I0+2+0+0], v[vgprValuA_X1_I0+6+0+0], a[36:39]
 // Cr += Ar*Br
/*  mfmaIndex:149  */
/* localReadsVacancy: latencyLeft 5 */
v_mfma_f32_16x16x4_f32 a[132+0:135+0], v[vgprValuB_X1_I0+2+0+0], v[vgprValuA_X1_I0+6+0+0+1], a[132:135]
 // Ci += Ai*Br
/*  mfmaIndex:150  */
/* localReadsVacancy: latencyLeft 5 */
v_mfma_f32_16x16x4_f32 a[36+0:39+0], v[vgprValuB_X1_I0+2+0+0+1], v91, a[36:39]
 // Cr += -Ai*Bi
/*  mfmaIndex:151  */
/* localReadsVacancy: latencyLeft 5 */
v_mfma_f32_16x16x4_f32 a[132+0:135+0], v[vgprValuB_X1_I0+2+0+0+1], v[vgprValuA_X1_I0+6+0+0], a[132:135]
 // Ci += Ar*Bi
/*  mfmaIndex:152  */
/* localReadsVacancy: latencyLeft 5 */
	;; [unrolled: 16-line block ×4, first 2 shown]
v_add_f32 v91, -v[vgprValuA_X1_I0+8+0+0+1], 0      // Ai=-Ai
v_mfma_f32_16x16x4_f32 a[16+0:19+0], v[vgprValuB_X1_I0+0+0+0], v[vgprValuA_X1_I0+8+0+0], a[16:19]
 // Cr += Ar*Br
/*  mfmaIndex:161  */
/* localReadsVacancy: latencyLeft 5 */
v_mfma_f32_16x16x4_f32 a[112+0:115+0], v[vgprValuB_X1_I0+0+0+0], v[vgprValuA_X1_I0+8+0+0+1], a[112:115]
 // Ci += Ai*Br
/*  mfmaIndex:162  */
/* localReadsVacancy: latencyLeft 5 */
v_mfma_f32_16x16x4_f32 a[16+0:19+0], v[vgprValuB_X1_I0+0+0+0+1], v91, a[16:19]
 // Cr += -Ai*Bi
/*  mfmaIndex:163  */
/* localReadsVacancy: latencyLeft 5 */
v_mfma_f32_16x16x4_f32 a[112+0:115+0], v[vgprValuB_X1_I0+0+0+0+1], v[vgprValuA_X1_I0+8+0+0], a[112:115]
 // Ci += Ar*Bi
/*  mfmaIndex:164  */
/* localReadsVacancy: latencyLeft 5 */
v_mfma_f32_16x16x4_f32 a[40+0:43+0], v[vgprValuB_X1_I0+2+0+0], v[vgprValuA_X1_I0+8+0+0], a[40:43]
 // Cr += Ar*Br
/*  mfmaIndex:165  */
/* localReadsVacancy: latencyLeft 5 */
v_mfma_f32_16x16x4_f32 a[136+0:139+0], v[vgprValuB_X1_I0+2+0+0], v[vgprValuA_X1_I0+8+0+0+1], a[136:139]
 // Ci += Ai*Br
/*  mfmaIndex:166  */
/* localReadsVacancy: latencyLeft 5 */
v_mfma_f32_16x16x4_f32 a[40+0:43+0], v[vgprValuB_X1_I0+2+0+0+1], v91, a[40:43]
 // Cr += -Ai*Bi
/*  mfmaIndex:167  */
/* localReadsVacancy: latencyLeft 5 */
v_mfma_f32_16x16x4_f32 a[136+0:139+0], v[vgprValuB_X1_I0+2+0+0+1], v[vgprValuA_X1_I0+8+0+0], a[136:139]
 // Ci += Ar*Bi
/*  mfmaIndex:168  */
/* localReadsVacancy: latencyLeft 5 */
	;; [unrolled: 16-line block ×4, first 2 shown]
v_add_f32 v91, -v[vgprValuA_X1_I0+10+0+0+1], 0     // Ai=-Ai
v_mfma_f32_16x16x4_f32 a[20+0:23+0], v[vgprValuB_X1_I0+0+0+0], v[vgprValuA_X1_I0+10+0+0], a[20:23]
 // Cr += Ar*Br
/*  mfmaIndex:177  */
/* localReadsVacancy: latencyLeft 5 */
v_mfma_f32_16x16x4_f32 a[116+0:119+0], v[vgprValuB_X1_I0+0+0+0], v[vgprValuA_X1_I0+10+0+0+1], a[116:119]
 // Ci += Ai*Br
/*  mfmaIndex:178  */
/* localReadsVacancy: latencyLeft 5 */
v_mfma_f32_16x16x4_f32 a[20+0:23+0], v[vgprValuB_X1_I0+0+0+0+1], v91, a[20:23]
 // Cr += -Ai*Bi
/*  mfmaIndex:179  */
/* localReadsVacancy: latencyLeft 5 */
v_mfma_f32_16x16x4_f32 a[116+0:119+0], v[vgprValuB_X1_I0+0+0+0+1], v[vgprValuA_X1_I0+10+0+0], a[116:119]
 // Ci += Ar*Bi
/*  mfmaIndex:180  */
/* localReadsVacancy: latencyLeft 5 */
v_mfma_f32_16x16x4_f32 a[44+0:47+0], v[vgprValuB_X1_I0+2+0+0], v[vgprValuA_X1_I0+10+0+0], a[44:47]
 // Cr += Ar*Br
/*  mfmaIndex:181  */
/* localReadsVacancy: latencyLeft 5 */
v_mfma_f32_16x16x4_f32 a[140+0:143+0], v[vgprValuB_X1_I0+2+0+0], v[vgprValuA_X1_I0+10+0+0+1], a[140:143]
 // Ci += Ai*Br
/*  mfmaIndex:182  */
/* localReadsVacancy: latencyLeft 5 */
v_mfma_f32_16x16x4_f32 a[44+0:47+0], v[vgprValuB_X1_I0+2+0+0+1], v91, a[44:47]
 // Cr += -Ai*Bi
/*  mfmaIndex:183  */
/* localReadsVacancy: latencyLeft 5 */
v_mfma_f32_16x16x4_f32 a[140+0:143+0], v[vgprValuB_X1_I0+2+0+0+1], v[vgprValuA_X1_I0+10+0+0], a[140:143]
 // Ci += Ar*Bi
/*  mfmaIndex:184  */
/* localReadsVacancy: latencyLeft 5 */
	;; [unrolled: 16-line block ×3, first 2 shown]
v_mfma_f32_16x16x4_f32 a[92+0:95+0], v[vgprValuB_X1_I0+6+0+0], v[vgprValuA_X1_I0+10+0+0], a[92:95]
 // Cr += Ar*Br
/*  mfmaIndex:189  */
/* localReadsVacancy: latencyLeft 5 */
v_mfma_f32_16x16x4_f32 a[188+0:191+0], v[vgprValuB_X1_I0+6+0+0], v[vgprValuA_X1_I0+10+0+0+1], a[188:191]
 // Ci += Ai*Br
/*  mfmaIndex:190  */
/* localReadsVacancy: latencyLeft 5 */
v_mfma_f32_16x16x4_f32 a[92+0:95+0], v[vgprValuB_X1_I0+6+0+0+1], v91, a[92:95]
 // Cr += -Ai*Bi
/*  mfmaIndex:191  */
/* localReadsVacancy: latencyLeft 5 */
v_mfma_f32_16x16x4_f32 a[188+0:191+0], v[vgprValuB_X1_I0+6+0+0+1], v[vgprValuA_X1_I0+10+0+0], a[188:191]
 // Ci += Ar*Bi
/* numPrefetchIter=0 */
/* dataAtIterA=0 numReadsIterA=2 skipReadsIterA=1 readsPerIterA=6 */
/* dataAtIterB=0 numReadsIterB=2 skipReadsIterB=1 readsPerIterB=4 */


/* iter 2 (reset local read pointers iteration)  (swap local read pointers iteration)  */

/*  grEndMfmaIndex:4, lwStartMfmaIndex:202, lwEndMfmaIndex:374  */
/*  numMfmaForLR:7, barrierMfmaIndex:376, LocalWritePerMfma:0.105 */
/*  mfmaIndex:192  */
_ds_load_b64 v[vgprValuA_X1_I0+0:vgprValuA_X1_I0+0+1], v[vgprLocalReadAddrA] offset:9216 // L -> Reg lro=1152 swapByteOffset=0 ti=32 vIdx=0 rIdx=0 oIdx=0 buffer=1 iui=0
_ds_load_b64 v[vgprValuB_X1_I0+0:vgprValuB_X1_I0+0+1], v[vgprLocalReadAddrB] offset:96 // L -> Reg lro=12 swapByteOffset=0 ti=64 vIdx=0 rIdx=0 oIdx=0 buffer=1 iui=0
s_waitcnt lgkmcnt(2)                               // lgkmcnt=0 vmcnt=-1wait for prior local read local write old=0, new=2 newLW=0 newLR=2
v_add_f32 v91, -v[vgprValuA_X0_I0+0+0+0+1], 0      // Ai=-Ai
v_mfma_f32_16x16x4_f32 a[0+0:3+0], v[vgprValuB_X0_I0+0+0+0], v[vgprValuA_X0_I0+0+0+0], a[0:3]
 // Cr += Ar*Br
/*  mfmaIndex:193  */
_ds_load_b64 v[vgprValuA_X1_I0+2:vgprValuA_X1_I0+2+1], v[vgprLocalReadAddrA] offset:9224 // L -> Reg lro=1152 swapByteOffset=0 ti=32 vIdx=0 rIdx=0 oIdx=0 buffer=1 iui=0
_ds_load_b64 v[vgprValuA_X1_I0+4:vgprValuA_X1_I0+4+1], v[vgprLocalReadAddrA] offset:9472 // L -> Reg lro=1152 swapByteOffset=0 ti=32 vIdx=1 rIdx=0 oIdx=0 buffer=1 iui=0
v_mfma_f32_16x16x4_f32 a[96+0:99+0], v[vgprValuB_X0_I0+0+0+0], v[vgprValuA_X0_I0+0+0+0+1], a[96:99]
 // Ci += Ai*Br
/*  mfmaIndex:194  */
_ds_load_b64 v[vgprValuA_X1_I0+6:vgprValuA_X1_I0+6+1], v[vgprLocalReadAddrA] offset:9480 // L -> Reg lro=1152 swapByteOffset=0 ti=32 vIdx=1 rIdx=0 oIdx=0 buffer=1 iui=0
_ds_load_b64 v[vgprValuA_X1_I0+8:vgprValuA_X1_I0+8+1], v[vgprLocalReadAddrA] offset:9728 // L -> Reg lro=1152 swapByteOffset=0 ti=32 vIdx=2 rIdx=0 oIdx=0 buffer=1 iui=0
v_mfma_f32_16x16x4_f32 a[0+0:3+0], v[vgprValuB_X0_I0+0+0+0+1], v91, a[0:3]
 // Cr += -Ai*Bi
/*  mfmaIndex:195  */
_ds_load_b64 v[vgprValuA_X1_I0+10:vgprValuA_X1_I0+10+1], v[vgprLocalReadAddrA] offset:9736 // L -> Reg lro=1152 swapByteOffset=0 ti=32 vIdx=2 rIdx=0 oIdx=0 buffer=1 iui=0
_ds_load_b64 v[vgprValuB_X1_I0+2:vgprValuB_X1_I0+2+1], v[vgprLocalReadAddrB] offset:8800 // L -> Reg lro=12 swapByteOffset=0 ti=64 vIdx=1 rIdx=0 oIdx=0 buffer=1 iui=0
v_mfma_f32_16x16x4_f32 a[96+0:99+0], v[vgprValuB_X0_I0+0+0+0+1], v[vgprValuA_X0_I0+0+0+0], a[96:99]
 // Ci += Ar*Bi
/*  mfmaIndex:196  */
_ds_load_b64 v[vgprValuB_X1_I0+4:vgprValuB_X1_I0+4+1], v[vgprLocalReadAddrB] offset:17504 // L -> Reg lro=12 swapByteOffset=0 ti=64 vIdx=2 rIdx=0 oIdx=0 buffer=1 iui=0
_ds_load_b64 v[vgprValuB_X1_I0+6:vgprValuB_X1_I0+6+1], v[vgprLocalReadAddrB] offset:26208 // L -> Reg lro=12 swapByteOffset=0 ti=64 vIdx=3 rIdx=0 oIdx=0 buffer=1 iui=0
/* localReadsVacancy: latencyLeft 1 */
v_mfma_f32_16x16x4_f32 a[24+0:27+0], v[vgprValuB_X0_I0+2+0+0], v[vgprValuA_X0_I0+0+0+0], a[24:27]
 // Cr += Ar*Br
/*  mfmaIndex:197  */
/* localReadsVacancy: latencyLeft 5 */
v_mfma_f32_16x16x4_f32 a[120+0:123+0], v[vgprValuB_X0_I0+2+0+0], v[vgprValuA_X0_I0+0+0+0+1], a[120:123]
 // Ci += Ai*Br
/*  mfmaIndex:198  */
/* localReadsVacancy: latencyLeft 5 */
v_mfma_f32_16x16x4_f32 a[24+0:27+0], v[vgprValuB_X0_I0+2+0+0+1], v91, a[24:27]
 // Cr += -Ai*Bi
/*  mfmaIndex:199  */
/* localReadsVacancy: latencyLeft 5 */
v_mfma_f32_16x16x4_f32 a[120+0:123+0], v[vgprValuB_X0_I0+2+0+0+1], v[vgprValuA_X0_I0+0+0+0], a[120:123]
 // Ci += Ar*Bi
/*  mfmaIndex:200  */
/* localReadsVacancy: latencyLeft 5 */
v_mfma_f32_16x16x4_f32 a[48+0:51+0], v[vgprValuB_X0_I0+4+0+0], v[vgprValuA_X0_I0+0+0+0], a[48:51]
 // Cr += Ar*Br
/*  mfmaIndex:201  */
/* localReadsVacancy: latencyLeft 5 */
/* 1 LDS buffer: read-sync-write */
s_waitcnt lgkmcnt(0)                               // 
s_barrier                                          // 
v_mfma_f32_16x16x4_f32 a[144+0:147+0], v[vgprValuB_X0_I0+4+0+0], v[vgprValuA_X0_I0+0+0+0+1], a[144:147]
 // Ci += Ai*Br
/*  mfmaIndex:202  */
/* sched write - iter 2 writesPerItem=1 */
s_waitcnt vmcnt(0)                                 // lgkmcnt=-1 vmcnt=0wait for global read before writing to local
_ds_store_b128 v[vgprLocalWriteAddrA], v[vgprG2LA+0:vgprG2LA+0+3] offset:0 // lwoA_0_0_0_0 = (0*LSCA) + (0*LSPA)(*MT0I+PAD) = 0
v_mfma_f32_16x16x4_f32 a[48+0:51+0], v[vgprValuB_X0_I0+4+0+0+1], v91, a[48:51]
 // Cr += -Ai*Bi
/*  mfmaIndex:203  */
_buffer_load_b128 v[vgprG2LA+0:vgprG2LA+0+3], v[vgprGlobalReadOffsetA+0], s[sgprSrdA:sgprSrdA+3], 0, offen offset:0 // G -> Reg 0_0_0_0
v_mfma_f32_16x16x4_f32 a[144+0:147+0], v[vgprValuB_X0_I0+4+0+0+1], v[vgprValuA_X0_I0+0+0+0], a[144:147]
 // Ci += Ar*Bi
/*  mfmaIndex:204  */
v_mfma_f32_16x16x4_f32 a[72+0:75+0], v[vgprValuB_X0_I0+6+0+0], v[vgprValuA_X0_I0+0+0+0], a[72:75]
 // Cr += Ar*Br
/*  mfmaIndex:205  */
v_mfma_f32_16x16x4_f32 a[168+0:171+0], v[vgprValuB_X0_I0+6+0+0], v[vgprValuA_X0_I0+0+0+0+1], a[168:171]
 // Ci += Ai*Br
/*  mfmaIndex:206  */
v_mfma_f32_16x16x4_f32 a[72+0:75+0], v[vgprValuB_X0_I0+6+0+0+1], v91, a[72:75]
 // Cr += -Ai*Bi
/*  mfmaIndex:207  */
v_mfma_f32_16x16x4_f32 a[168+0:171+0], v[vgprValuB_X0_I0+6+0+0+1], v[vgprValuA_X0_I0+0+0+0], a[168:171]
 // Ci += Ar*Bi
/*  mfmaIndex:208  */
v_add_f32 v91, -v[vgprValuA_X0_I0+2+0+0+1], 0      // Ai=-Ai
v_mfma_f32_16x16x4_f32 a[4+0:7+0], v[vgprValuB_X0_I0+0+0+0], v[vgprValuA_X0_I0+2+0+0], a[4:7]
 // Cr += Ar*Br
/*  mfmaIndex:209  */
v_mfma_f32_16x16x4_f32 a[100+0:103+0], v[vgprValuB_X0_I0+0+0+0], v[vgprValuA_X0_I0+2+0+0+1], a[100:103]
 // Ci += Ai*Br
/*  mfmaIndex:210  */
v_mfma_f32_16x16x4_f32 a[4+0:7+0], v[vgprValuB_X0_I0+0+0+0+1], v91, a[4:7]
 // Cr += -Ai*Bi
/*  mfmaIndex:211  */
/* sched write - iter 2 writesPerItem=1 */
s_waitcnt vmcnt(0)                                 // lgkmcnt=-1 vmcnt=0wait for global read before writing to local
_ds_store_b128 v[vgprLocalWriteAddrA], v[vgprG2LA+4:vgprG2LA+4+3] offset:256 // lwoA_1_0_0_0 = (1*LSCA) + (0*LSPA)(*MT0I+PAD) = 256
v_mfma_f32_16x16x4_f32 a[100+0:103+0], v[vgprValuB_X0_I0+0+0+0+1], v[vgprValuA_X0_I0+2+0+0], a[100:103]
 // Ci += Ar*Bi
/*  mfmaIndex:212  */
_buffer_load_b128 v[vgprG2LA+4:vgprG2LA+4+3], v[vgprGlobalReadOffsetA+0], s[sgprSrdA:sgprSrdA+3], s[sgprScalarGlobalReadOffsetA+0], offen offset:0 // G -> Reg 1_0_0_0
v_mfma_f32_16x16x4_f32 a[28+0:31+0], v[vgprValuB_X0_I0+2+0+0], v[vgprValuA_X0_I0+2+0+0], a[28:31]
 // Cr += Ar*Br
/*  mfmaIndex:213  */
v_mfma_f32_16x16x4_f32 a[124+0:127+0], v[vgprValuB_X0_I0+2+0+0], v[vgprValuA_X0_I0+2+0+0+1], a[124:127]
 // Ci += Ai*Br
/*  mfmaIndex:214  */
v_mfma_f32_16x16x4_f32 a[28+0:31+0], v[vgprValuB_X0_I0+2+0+0+1], v91, a[28:31]
 // Cr += -Ai*Bi
/*  mfmaIndex:215  */
v_mfma_f32_16x16x4_f32 a[124+0:127+0], v[vgprValuB_X0_I0+2+0+0+1], v[vgprValuA_X0_I0+2+0+0], a[124:127]
 // Ci += Ar*Bi
/*  mfmaIndex:216  */
v_mfma_f32_16x16x4_f32 a[52+0:55+0], v[vgprValuB_X0_I0+4+0+0], v[vgprValuA_X0_I0+2+0+0], a[52:55]
 // Cr += Ar*Br
/*  mfmaIndex:217  */
v_mfma_f32_16x16x4_f32 a[148+0:151+0], v[vgprValuB_X0_I0+4+0+0], v[vgprValuA_X0_I0+2+0+0+1], a[148:151]
 // Ci += Ai*Br
/*  mfmaIndex:218  */
v_mfma_f32_16x16x4_f32 a[52+0:55+0], v[vgprValuB_X0_I0+4+0+0+1], v91, a[52:55]
 // Cr += -Ai*Bi
/*  mfmaIndex:219  */
v_mfma_f32_16x16x4_f32 a[148+0:151+0], v[vgprValuB_X0_I0+4+0+0+1], v[vgprValuA_X0_I0+2+0+0], a[148:151]
 // Ci += Ar*Bi
/*  mfmaIndex:220  */
v_mfma_f32_16x16x4_f32 a[76+0:79+0], v[vgprValuB_X0_I0+6+0+0], v[vgprValuA_X0_I0+2+0+0], a[76:79]
 // Cr += Ar*Br
/*  mfmaIndex:221  */
/* sched write - iter 2 writesPerItem=1 */
s_waitcnt vmcnt(0)                                 // lgkmcnt=-1 vmcnt=0wait for global read before writing to local
_ds_store_b128 v[vgprLocalWriteAddrA], v[vgprG2LA+8:vgprG2LA+8+3] offset:512 // lwoA_2_0_0_0 = (2*LSCA) + (0*LSPA)(*MT0I+PAD) = 512
v_mfma_f32_16x16x4_f32 a[172+0:175+0], v[vgprValuB_X0_I0+6+0+0], v[vgprValuA_X0_I0+2+0+0+1], a[172:175]
 // Ci += Ai*Br
/*  mfmaIndex:222  */
_buffer_load_b128 v[vgprG2LA+8:vgprG2LA+8+3], v[vgprGlobalReadOffsetA+0], s[sgprSrdA:sgprSrdA+3], s[sgprScalarGlobalReadOffsetA+1], offen offset:0 // G -> Reg 2_0_0_0
v_mfma_f32_16x16x4_f32 a[76+0:79+0], v[vgprValuB_X0_I0+6+0+0+1], v91, a[76:79]
 // Cr += -Ai*Bi
/*  mfmaIndex:223  */
v_mfma_f32_16x16x4_f32 a[172+0:175+0], v[vgprValuB_X0_I0+6+0+0+1], v[vgprValuA_X0_I0+2+0+0], a[172:175]
 // Ci += Ar*Bi
/*  mfmaIndex:224  */
v_add_f32 v91, -v[vgprValuA_X0_I0+4+0+0+1], 0      // Ai=-Ai
v_mfma_f32_16x16x4_f32 a[8+0:11+0], v[vgprValuB_X0_I0+0+0+0], v[vgprValuA_X0_I0+4+0+0], a[8:11]
 // Cr += Ar*Br
/*  mfmaIndex:225  */
v_mfma_f32_16x16x4_f32 a[104+0:107+0], v[vgprValuB_X0_I0+0+0+0], v[vgprValuA_X0_I0+4+0+0+1], a[104:107]
 // Ci += Ai*Br
/*  mfmaIndex:226  */
v_mfma_f32_16x16x4_f32 a[8+0:11+0], v[vgprValuB_X0_I0+0+0+0+1], v91, a[8:11]
 // Cr += -Ai*Bi
/*  mfmaIndex:227  */
v_mfma_f32_16x16x4_f32 a[104+0:107+0], v[vgprValuB_X0_I0+0+0+0+1], v[vgprValuA_X0_I0+4+0+0], a[104:107]
 // Ci += Ar*Bi
/*  mfmaIndex:228  */
v_mfma_f32_16x16x4_f32 a[32+0:35+0], v[vgprValuB_X0_I0+2+0+0], v[vgprValuA_X0_I0+4+0+0], a[32:35]
 // Cr += Ar*Br
/*  mfmaIndex:229  */
v_mfma_f32_16x16x4_f32 a[128+0:131+0], v[vgprValuB_X0_I0+2+0+0], v[vgprValuA_X0_I0+4+0+0+1], a[128:131]
 // Ci += Ai*Br
/*  mfmaIndex:230  */
/* sched write - iter 2 writesPerItem=1 */
s_waitcnt vmcnt(0)                                 // lgkmcnt=-1 vmcnt=0wait for global read before writing to local
_ds_store_b64 v[vgprLocalWriteAddrB], v[vgprG2LB+0:vgprG2LB+0+1] offset:0 // lwoB_0_0_0_0 = (0*LSCB)*(MT1J+PAD) + (0*LSPB) = 0
v_mfma_f32_16x16x4_f32 a[32+0:35+0], v[vgprValuB_X0_I0+2+0+0+1], v91, a[32:35]
 // Cr += -Ai*Bi
/*  mfmaIndex:231  */
_buffer_load_b64 v[vgprG2LB+0:vgprG2LB+0+1], v[vgprGlobalReadOffsetB+0], s[sgprSrdB:sgprSrdB+3], 0, offen offset:0 // G -> Reg 0_0_0_0
v_mfma_f32_16x16x4_f32 a[128+0:131+0], v[vgprValuB_X0_I0+2+0+0+1], v[vgprValuA_X0_I0+4+0+0], a[128:131]
 // Ci += Ar*Bi
/*  mfmaIndex:232  */
v_mfma_f32_16x16x4_f32 a[56+0:59+0], v[vgprValuB_X0_I0+4+0+0], v[vgprValuA_X0_I0+4+0+0], a[56:59]
 // Cr += Ar*Br
/*  mfmaIndex:233  */
v_mfma_f32_16x16x4_f32 a[152+0:155+0], v[vgprValuB_X0_I0+4+0+0], v[vgprValuA_X0_I0+4+0+0+1], a[152:155]
 // Ci += Ai*Br
/*  mfmaIndex:234  */
v_mfma_f32_16x16x4_f32 a[56+0:59+0], v[vgprValuB_X0_I0+4+0+0+1], v91, a[56:59]
 // Cr += -Ai*Bi
/*  mfmaIndex:235  */
v_mfma_f32_16x16x4_f32 a[152+0:155+0], v[vgprValuB_X0_I0+4+0+0+1], v[vgprValuA_X0_I0+4+0+0], a[152:155]
 // Ci += Ar*Bi
/*  mfmaIndex:236  */
v_mfma_f32_16x16x4_f32 a[80+0:83+0], v[vgprValuB_X0_I0+6+0+0], v[vgprValuA_X0_I0+4+0+0], a[80:83]
 // Cr += Ar*Br
/*  mfmaIndex:237  */
v_mfma_f32_16x16x4_f32 a[176+0:179+0], v[vgprValuB_X0_I0+6+0+0], v[vgprValuA_X0_I0+4+0+0+1], a[176:179]
 // Ci += Ai*Br
/*  mfmaIndex:238  */
v_mfma_f32_16x16x4_f32 a[80+0:83+0], v[vgprValuB_X0_I0+6+0+0+1], v91, a[80:83]
 // Cr += -Ai*Bi
/*  mfmaIndex:239  */
v_mfma_f32_16x16x4_f32 a[176+0:179+0], v[vgprValuB_X0_I0+6+0+0+1], v[vgprValuA_X0_I0+4+0+0], a[176:179]
 // Ci += Ar*Bi
/*  mfmaIndex:240  */
/* sched write - iter 2 writesPerItem=1 */
s_waitcnt vmcnt(0)                                 // lgkmcnt=-1 vmcnt=0wait for global read before writing to local
_ds_store_b64 v[vgprLocalWriteAddrB], v[vgprG2LB+2:vgprG2LB+2+1] offset:2176 // lwoB_0_0_1_0 = (0*LSCB)*(MT1J+PAD) + (1*LSPB) = 2176
v_add_f32 v91, -v[vgprValuA_X0_I0+6+0+0+1], 0      // Ai=-Ai
v_mfma_f32_16x16x4_f32 a[12+0:15+0], v[vgprValuB_X0_I0+0+0+0], v[vgprValuA_X0_I0+6+0+0], a[12:15]
 // Cr += Ar*Br
/*  mfmaIndex:241  */
_buffer_load_b64 v[vgprG2LB+2:vgprG2LB+2+1], v[vgprGlobalReadOffsetB+0], s[sgprSrdB:sgprSrdB+3], s[sgprScalarGlobalReadOffsetB+0], offen offset:0 // G -> Reg 0_0_1_0
v_mfma_f32_16x16x4_f32 a[108+0:111+0], v[vgprValuB_X0_I0+0+0+0], v[vgprValuA_X0_I0+6+0+0+1], a[108:111]
 // Ci += Ai*Br
/*  mfmaIndex:242  */
v_mfma_f32_16x16x4_f32 a[12+0:15+0], v[vgprValuB_X0_I0+0+0+0+1], v91, a[12:15]
 // Cr += -Ai*Bi
/*  mfmaIndex:243  */
v_mfma_f32_16x16x4_f32 a[108+0:111+0], v[vgprValuB_X0_I0+0+0+0+1], v[vgprValuA_X0_I0+6+0+0], a[108:111]
 // Ci += Ar*Bi
/*  mfmaIndex:244  */
v_mfma_f32_16x16x4_f32 a[36+0:39+0], v[vgprValuB_X0_I0+2+0+0], v[vgprValuA_X0_I0+6+0+0], a[36:39]
 // Cr += Ar*Br
/*  mfmaIndex:245  */
v_mfma_f32_16x16x4_f32 a[132+0:135+0], v[vgprValuB_X0_I0+2+0+0], v[vgprValuA_X0_I0+6+0+0+1], a[132:135]
 // Ci += Ai*Br
/*  mfmaIndex:246  */
v_mfma_f32_16x16x4_f32 a[36+0:39+0], v[vgprValuB_X0_I0+2+0+0+1], v91, a[36:39]
 // Cr += -Ai*Bi
/*  mfmaIndex:247  */
v_mfma_f32_16x16x4_f32 a[132+0:135+0], v[vgprValuB_X0_I0+2+0+0+1], v[vgprValuA_X0_I0+6+0+0], a[132:135]
 // Ci += Ar*Bi
/*  mfmaIndex:248  */
v_mfma_f32_16x16x4_f32 a[60+0:63+0], v[vgprValuB_X0_I0+4+0+0], v[vgprValuA_X0_I0+6+0+0], a[60:63]
 // Cr += Ar*Br
/*  mfmaIndex:249  */
/* sched write - iter 2 writesPerItem=1 */
s_waitcnt vmcnt(0)                                 // lgkmcnt=-1 vmcnt=0wait for global read before writing to local
_ds_store_b64 v[vgprLocalWriteAddrB], v[vgprG2LB+4:vgprG2LB+4+1] offset:4352 // lwoB_0_0_2_0 = (0*LSCB)*(MT1J+PAD) + (2*LSPB) = 4352
v_mfma_f32_16x16x4_f32 a[156+0:159+0], v[vgprValuB_X0_I0+4+0+0], v[vgprValuA_X0_I0+6+0+0+1], a[156:159]
 // Ci += Ai*Br
/*  mfmaIndex:250  */
_buffer_load_b64 v[vgprG2LB+4:vgprG2LB+4+1], v[vgprGlobalReadOffsetB+0], s[sgprSrdB:sgprSrdB+3], s[sgprScalarGlobalReadOffsetB+1], offen offset:0 // G -> Reg 0_0_2_0
v_mfma_f32_16x16x4_f32 a[60+0:63+0], v[vgprValuB_X0_I0+4+0+0+1], v91, a[60:63]
 // Cr += -Ai*Bi
/*  mfmaIndex:251  */
v_mfma_f32_16x16x4_f32 a[156+0:159+0], v[vgprValuB_X0_I0+4+0+0+1], v[vgprValuA_X0_I0+6+0+0], a[156:159]
 // Ci += Ar*Bi
/*  mfmaIndex:252  */
v_mfma_f32_16x16x4_f32 a[84+0:87+0], v[vgprValuB_X0_I0+6+0+0], v[vgprValuA_X0_I0+6+0+0], a[84:87]
 // Cr += Ar*Br
/*  mfmaIndex:253  */
v_mfma_f32_16x16x4_f32 a[180+0:183+0], v[vgprValuB_X0_I0+6+0+0], v[vgprValuA_X0_I0+6+0+0+1], a[180:183]
 // Ci += Ai*Br
/*  mfmaIndex:254  */
v_mfma_f32_16x16x4_f32 a[84+0:87+0], v[vgprValuB_X0_I0+6+0+0+1], v91, a[84:87]
 // Cr += -Ai*Bi
/*  mfmaIndex:255  */
v_mfma_f32_16x16x4_f32 a[180+0:183+0], v[vgprValuB_X0_I0+6+0+0+1], v[vgprValuA_X0_I0+6+0+0], a[180:183]
 // Ci += Ar*Bi
/*  mfmaIndex:256  */
v_add_f32 v91, -v[vgprValuA_X0_I0+8+0+0+1], 0      // Ai=-Ai
v_mfma_f32_16x16x4_f32 a[16+0:19+0], v[vgprValuB_X0_I0+0+0+0], v[vgprValuA_X0_I0+8+0+0], a[16:19]
 // Cr += Ar*Br
/*  mfmaIndex:257  */
v_mfma_f32_16x16x4_f32 a[112+0:115+0], v[vgprValuB_X0_I0+0+0+0], v[vgprValuA_X0_I0+8+0+0+1], a[112:115]
 // Ci += Ai*Br
/*  mfmaIndex:258  */
v_mfma_f32_16x16x4_f32 a[16+0:19+0], v[vgprValuB_X0_I0+0+0+0+1], v91, a[16:19]
 // Cr += -Ai*Bi
/*  mfmaIndex:259  */
/* sched write - iter 2 writesPerItem=1 */
s_waitcnt vmcnt(0)                                 // lgkmcnt=-1 vmcnt=0wait for global read before writing to local
_ds_store_b64 v[vgprLocalWriteAddrB], v[vgprG2LB+6:vgprG2LB+6+1] offset:6528 // lwoB_0_0_3_0 = (0*LSCB)*(MT1J+PAD) + (3*LSPB) = 6528
v_mfma_f32_16x16x4_f32 a[112+0:115+0], v[vgprValuB_X0_I0+0+0+0+1], v[vgprValuA_X0_I0+8+0+0], a[112:115]
 // Ci += Ar*Bi
/*  mfmaIndex:260  */
_buffer_load_b64 v[vgprG2LB+6:vgprG2LB+6+1], v[vgprGlobalReadOffsetB+0], s[sgprSrdB:sgprSrdB+3], s[sgprScalarGlobalReadOffsetB+2], offen offset:0 // G -> Reg 0_0_3_0
v_mfma_f32_16x16x4_f32 a[40+0:43+0], v[vgprValuB_X0_I0+2+0+0], v[vgprValuA_X0_I0+8+0+0], a[40:43]
 // Cr += Ar*Br
/*  mfmaIndex:261  */
v_mfma_f32_16x16x4_f32 a[136+0:139+0], v[vgprValuB_X0_I0+2+0+0], v[vgprValuA_X0_I0+8+0+0+1], a[136:139]
 // Ci += Ai*Br
/*  mfmaIndex:262  */
v_mfma_f32_16x16x4_f32 a[40+0:43+0], v[vgprValuB_X0_I0+2+0+0+1], v91, a[40:43]
 // Cr += -Ai*Bi
/*  mfmaIndex:263  */
v_mfma_f32_16x16x4_f32 a[136+0:139+0], v[vgprValuB_X0_I0+2+0+0+1], v[vgprValuA_X0_I0+8+0+0], a[136:139]
 // Ci += Ar*Bi
/*  mfmaIndex:264  */
v_mfma_f32_16x16x4_f32 a[64+0:67+0], v[vgprValuB_X0_I0+4+0+0], v[vgprValuA_X0_I0+8+0+0], a[64:67]
 // Cr += Ar*Br
/*  mfmaIndex:265  */
v_mfma_f32_16x16x4_f32 a[160+0:163+0], v[vgprValuB_X0_I0+4+0+0], v[vgprValuA_X0_I0+8+0+0+1], a[160:163]
 // Ci += Ai*Br
/*  mfmaIndex:266  */
v_mfma_f32_16x16x4_f32 a[64+0:67+0], v[vgprValuB_X0_I0+4+0+0+1], v91, a[64:67]
 // Cr += -Ai*Bi
/*  mfmaIndex:267  */
v_mfma_f32_16x16x4_f32 a[160+0:163+0], v[vgprValuB_X0_I0+4+0+0+1], v[vgprValuA_X0_I0+8+0+0], a[160:163]
 // Ci += Ar*Bi
/*  mfmaIndex:268  */
/* sched write - iter 2 writesPerItem=1 */
s_waitcnt vmcnt(0)                                 // lgkmcnt=-1 vmcnt=0wait for global read before writing to local
_ds_store_b64 v[vgprLocalWriteAddrB], v[vgprG2LB+8:vgprG2LB+8+1] offset:8704 // lwoB_0_0_4_0 = (0*LSCB)*(MT1J+PAD) + (4*LSPB) = 8704
v_mfma_f32_16x16x4_f32 a[88+0:91+0], v[vgprValuB_X0_I0+6+0+0], v[vgprValuA_X0_I0+8+0+0], a[88:91]
 // Cr += Ar*Br
/*  mfmaIndex:269  */
_buffer_load_b64 v[vgprG2LB+8:vgprG2LB+8+1], v[vgprGlobalReadOffsetB+0], s[sgprSrdB:sgprSrdB+3], s[sgprScalarGlobalReadOffsetB+3], offen offset:0 // G -> Reg 0_0_4_0
v_mfma_f32_16x16x4_f32 a[184+0:187+0], v[vgprValuB_X0_I0+6+0+0], v[vgprValuA_X0_I0+8+0+0+1], a[184:187]
 // Ci += Ai*Br
/*  mfmaIndex:270  */
v_mfma_f32_16x16x4_f32 a[88+0:91+0], v[vgprValuB_X0_I0+6+0+0+1], v91, a[88:91]
 // Cr += -Ai*Bi
/*  mfmaIndex:271  */
v_mfma_f32_16x16x4_f32 a[184+0:187+0], v[vgprValuB_X0_I0+6+0+0+1], v[vgprValuA_X0_I0+8+0+0], a[184:187]
 // Ci += Ar*Bi
/*  mfmaIndex:272  */
v_add_f32 v91, -v[vgprValuA_X0_I0+10+0+0+1], 0     // Ai=-Ai
v_mfma_f32_16x16x4_f32 a[20+0:23+0], v[vgprValuB_X0_I0+0+0+0], v[vgprValuA_X0_I0+10+0+0], a[20:23]
 // Cr += Ar*Br
/*  mfmaIndex:273  */
v_mfma_f32_16x16x4_f32 a[116+0:119+0], v[vgprValuB_X0_I0+0+0+0], v[vgprValuA_X0_I0+10+0+0+1], a[116:119]
 // Ci += Ai*Br
/*  mfmaIndex:274  */
v_mfma_f32_16x16x4_f32 a[20+0:23+0], v[vgprValuB_X0_I0+0+0+0+1], v91, a[20:23]
 // Cr += -Ai*Bi
/*  mfmaIndex:275  */
v_mfma_f32_16x16x4_f32 a[116+0:119+0], v[vgprValuB_X0_I0+0+0+0+1], v[vgprValuA_X0_I0+10+0+0], a[116:119]
 // Ci += Ar*Bi
/*  mfmaIndex:276  */
v_mfma_f32_16x16x4_f32 a[44+0:47+0], v[vgprValuB_X0_I0+2+0+0], v[vgprValuA_X0_I0+10+0+0], a[44:47]
 // Cr += Ar*Br
/*  mfmaIndex:277  */
v_mfma_f32_16x16x4_f32 a[140+0:143+0], v[vgprValuB_X0_I0+2+0+0], v[vgprValuA_X0_I0+10+0+0+1], a[140:143]
 // Ci += Ai*Br
/*  mfmaIndex:278  */
/* sched write - iter 2 writesPerItem=1 */
s_waitcnt vmcnt(0)                                 // lgkmcnt=-1 vmcnt=0wait for global read before writing to local
_ds_store_b64 v[vgprLocalWriteAddrB], v[vgprG2LB+10:vgprG2LB+10+1] offset:10880 // lwoB_0_0_5_0 = (0*LSCB)*(MT1J+PAD) + (5*LSPB) = 10880
v_mfma_f32_16x16x4_f32 a[44+0:47+0], v[vgprValuB_X0_I0+2+0+0+1], v91, a[44:47]
 // Cr += -Ai*Bi
/*  mfmaIndex:279  */
_buffer_load_b64 v[vgprG2LB+10:vgprG2LB+10+1], v[vgprGlobalReadOffsetB+0], s[sgprSrdB:sgprSrdB+3], s[sgprScalarGlobalReadOffsetB+4], offen offset:0 // G -> Reg 0_0_5_0
v_mfma_f32_16x16x4_f32 a[140+0:143+0], v[vgprValuB_X0_I0+2+0+0+1], v[vgprValuA_X0_I0+10+0+0], a[140:143]
 // Ci += Ar*Bi
/*  mfmaIndex:280  */
v_mfma_f32_16x16x4_f32 a[68+0:71+0], v[vgprValuB_X0_I0+4+0+0], v[vgprValuA_X0_I0+10+0+0], a[68:71]
 // Cr += Ar*Br
/*  mfmaIndex:281  */
v_mfma_f32_16x16x4_f32 a[164+0:167+0], v[vgprValuB_X0_I0+4+0+0], v[vgprValuA_X0_I0+10+0+0+1], a[164:167]
 // Ci += Ai*Br
/*  mfmaIndex:282  */
v_mfma_f32_16x16x4_f32 a[68+0:71+0], v[vgprValuB_X0_I0+4+0+0+1], v91, a[68:71]
 // Cr += -Ai*Bi
/*  mfmaIndex:283  */
v_mfma_f32_16x16x4_f32 a[164+0:167+0], v[vgprValuB_X0_I0+4+0+0+1], v[vgprValuA_X0_I0+10+0+0], a[164:167]
 // Ci += Ar*Bi
/*  mfmaIndex:284  */
v_mfma_f32_16x16x4_f32 a[92+0:95+0], v[vgprValuB_X0_I0+6+0+0], v[vgprValuA_X0_I0+10+0+0], a[92:95]
 // Cr += Ar*Br
/*  mfmaIndex:285  */
v_mfma_f32_16x16x4_f32 a[188+0:191+0], v[vgprValuB_X0_I0+6+0+0], v[vgprValuA_X0_I0+10+0+0+1], a[188:191]
 // Ci += Ai*Br
/*  mfmaIndex:286  */
v_mfma_f32_16x16x4_f32 a[92+0:95+0], v[vgprValuB_X0_I0+6+0+0+1], v91, a[92:95]
 // Cr += -Ai*Bi
/*  mfmaIndex:287  */
/* sched write - iter 2 writesPerItem=1 */
s_waitcnt vmcnt(0)                                 // lgkmcnt=-1 vmcnt=0wait for global read before writing to local
_ds_store_b64 v[vgprLocalWriteAddrB], v[vgprG2LB+12:vgprG2LB+12+1] offset:13056 // lwoB_0_0_6_0 = (0*LSCB)*(MT1J+PAD) + (6*LSPB) = 13056

/* local read swap offsets a */

/* local read swap offsets b */

/* local read init pointers a */

/* localReadInitPointers */

/* local read init pointers b */

/* localReadInitPointers */
v_mfma_f32_16x16x4_f32 a[188+0:191+0], v[vgprValuB_X0_I0+6+0+0+1], v[vgprValuA_X0_I0+10+0+0], a[188:191]
 // Ci += Ar*Bi
/* numPrefetchIter=0 */
/* dataAtIterA=1 numReadsIterA=3 skipReadsIterA=1 readsPerIterA=6 */
/* dataAtIterB=1 numReadsIterB=3 skipReadsIterB=1 readsPerIterB=4 */


/* iter 3 (swap and reset local write pointers iteration)  */

/*  grEndMfmaIndex:4, lwStartMfmaIndex:202, lwEndMfmaIndex:374  */
/*  numMfmaForLR:7, barrierMfmaIndex:376, LocalWritePerMfma:0.105 */
/*  mfmaIndex:288  */
_buffer_load_b64 v[vgprG2LB+12:vgprG2LB+12+1], v[vgprGlobalReadOffsetB+0], s[sgprSrdB:sgprSrdB+3], s[sgprScalarGlobalReadOffsetB+5], offen offset:0 // G -> Reg 0_0_6_0
s_waitcnt lgkmcnt(10)                              // lgkmcnt=0 vmcnt=-1wait for prior local read local write old=0, new=10 newLW=10 newLR=0
v_add_f32 v91, -v[vgprValuA_X1_I0+0+0+0+1], 0      // Ai=-Ai
v_mfma_f32_16x16x4_f32 a[0+0:3+0], v[vgprValuB_X1_I0+0+0+0], v[vgprValuA_X1_I0+0+0+0], a[0:3]
 // Cr += Ar*Br
/*  mfmaIndex:289  */
v_mfma_f32_16x16x4_f32 a[96+0:99+0], v[vgprValuB_X1_I0+0+0+0], v[vgprValuA_X1_I0+0+0+0+1], a[96:99]
 // Ci += Ai*Br
/*  mfmaIndex:290  */
v_mfma_f32_16x16x4_f32 a[0+0:3+0], v[vgprValuB_X1_I0+0+0+0+1], v91, a[0:3]
 // Cr += -Ai*Bi
/*  mfmaIndex:291  */
v_mfma_f32_16x16x4_f32 a[96+0:99+0], v[vgprValuB_X1_I0+0+0+0+1], v[vgprValuA_X1_I0+0+0+0], a[96:99]
 // Ci += Ar*Bi
/*  mfmaIndex:292  */
v_mfma_f32_16x16x4_f32 a[24+0:27+0], v[vgprValuB_X1_I0+2+0+0], v[vgprValuA_X1_I0+0+0+0], a[24:27]
 // Cr += Ar*Br
/*  mfmaIndex:293  */
v_mfma_f32_16x16x4_f32 a[120+0:123+0], v[vgprValuB_X1_I0+2+0+0], v[vgprValuA_X1_I0+0+0+0+1], a[120:123]
 // Ci += Ai*Br
/*  mfmaIndex:294  */
v_mfma_f32_16x16x4_f32 a[24+0:27+0], v[vgprValuB_X1_I0+2+0+0+1], v91, a[24:27]
 // Cr += -Ai*Bi
/*  mfmaIndex:295  */
v_mfma_f32_16x16x4_f32 a[120+0:123+0], v[vgprValuB_X1_I0+2+0+0+1], v[vgprValuA_X1_I0+0+0+0], a[120:123]
 // Ci += Ar*Bi
/*  mfmaIndex:296  */
v_mfma_f32_16x16x4_f32 a[48+0:51+0], v[vgprValuB_X1_I0+4+0+0], v[vgprValuA_X1_I0+0+0+0], a[48:51]
 // Cr += Ar*Br
/*  mfmaIndex:297  */
/* sched write - iter 3 writesPerItem=1 */
s_waitcnt vmcnt(0)                                 // lgkmcnt=-1 vmcnt=0wait for global read before writing to local
_ds_store_b64 v[vgprLocalWriteAddrB], v[vgprG2LB+14:vgprG2LB+14+1] offset:15232 // lwoB_0_0_7_0 = (0*LSCB)*(MT1J+PAD) + (7*LSPB) = 15232
v_mfma_f32_16x16x4_f32 a[144+0:147+0], v[vgprValuB_X1_I0+4+0+0], v[vgprValuA_X1_I0+0+0+0+1], a[144:147]
 // Ci += Ai*Br
/*  mfmaIndex:298  */
_buffer_load_b64 v[vgprG2LB+14:vgprG2LB+14+1], v[vgprGlobalReadOffsetB+0], s[sgprSrdB:sgprSrdB+3], s[sgprScalarGlobalReadOffsetB+6], offen offset:0 // G -> Reg 0_0_7_0
v_mfma_f32_16x16x4_f32 a[48+0:51+0], v[vgprValuB_X1_I0+4+0+0+1], v91, a[48:51]
 // Cr += -Ai*Bi
/*  mfmaIndex:299  */
v_mfma_f32_16x16x4_f32 a[144+0:147+0], v[vgprValuB_X1_I0+4+0+0+1], v[vgprValuA_X1_I0+0+0+0], a[144:147]
 // Ci += Ar*Bi
/*  mfmaIndex:300  */
v_mfma_f32_16x16x4_f32 a[72+0:75+0], v[vgprValuB_X1_I0+6+0+0], v[vgprValuA_X1_I0+0+0+0], a[72:75]
 // Cr += Ar*Br
/*  mfmaIndex:301  */
v_mfma_f32_16x16x4_f32 a[168+0:171+0], v[vgprValuB_X1_I0+6+0+0], v[vgprValuA_X1_I0+0+0+0+1], a[168:171]
 // Ci += Ai*Br
/*  mfmaIndex:302  */
v_mfma_f32_16x16x4_f32 a[72+0:75+0], v[vgprValuB_X1_I0+6+0+0+1], v91, a[72:75]
 // Cr += -Ai*Bi
/*  mfmaIndex:303  */
v_mfma_f32_16x16x4_f32 a[168+0:171+0], v[vgprValuB_X1_I0+6+0+0+1], v[vgprValuA_X1_I0+0+0+0], a[168:171]
 // Ci += Ar*Bi
/*  mfmaIndex:304  */
v_add_f32 v91, -v[vgprValuA_X1_I0+2+0+0+1], 0      // Ai=-Ai
v_mfma_f32_16x16x4_f32 a[4+0:7+0], v[vgprValuB_X1_I0+0+0+0], v[vgprValuA_X1_I0+2+0+0], a[4:7]
 // Cr += Ar*Br
/*  mfmaIndex:305  */
v_mfma_f32_16x16x4_f32 a[100+0:103+0], v[vgprValuB_X1_I0+0+0+0], v[vgprValuA_X1_I0+2+0+0+1], a[100:103]
 // Ci += Ai*Br
/*  mfmaIndex:306  */
/* sched write - iter 3 writesPerItem=1 */
s_waitcnt vmcnt(0)                                 // lgkmcnt=-1 vmcnt=0wait for global read before writing to local
_ds_store_b64 v[vgprLocalWriteAddrB], v[vgprG2LB+16:vgprG2LB+16+1] offset:17408 // lwoB_0_0_8_0 = (0*LSCB)*(MT1J+PAD) + (8*LSPB) = 17408
v_mfma_f32_16x16x4_f32 a[4+0:7+0], v[vgprValuB_X1_I0+0+0+0+1], v91, a[4:7]
 // Cr += -Ai*Bi
/*  mfmaIndex:307  */
_buffer_load_b64 v[vgprG2LB+16:vgprG2LB+16+1], v[vgprGlobalReadOffsetB+0], s[sgprSrdB:sgprSrdB+3], s[sgprScalarGlobalReadOffsetB+7], offen offset:0 // G -> Reg 0_0_8_0
v_mfma_f32_16x16x4_f32 a[100+0:103+0], v[vgprValuB_X1_I0+0+0+0+1], v[vgprValuA_X1_I0+2+0+0], a[100:103]
 // Ci += Ar*Bi
/*  mfmaIndex:308  */
v_mfma_f32_16x16x4_f32 a[28+0:31+0], v[vgprValuB_X1_I0+2+0+0], v[vgprValuA_X1_I0+2+0+0], a[28:31]
 // Cr += Ar*Br
/*  mfmaIndex:309  */
v_mfma_f32_16x16x4_f32 a[124+0:127+0], v[vgprValuB_X1_I0+2+0+0], v[vgprValuA_X1_I0+2+0+0+1], a[124:127]
 // Ci += Ai*Br
/*  mfmaIndex:310  */
v_mfma_f32_16x16x4_f32 a[28+0:31+0], v[vgprValuB_X1_I0+2+0+0+1], v91, a[28:31]
 // Cr += -Ai*Bi
/*  mfmaIndex:311  */
v_mfma_f32_16x16x4_f32 a[124+0:127+0], v[vgprValuB_X1_I0+2+0+0+1], v[vgprValuA_X1_I0+2+0+0], a[124:127]
 // Ci += Ar*Bi
/*  mfmaIndex:312  */
v_mfma_f32_16x16x4_f32 a[52+0:55+0], v[vgprValuB_X1_I0+4+0+0], v[vgprValuA_X1_I0+2+0+0], a[52:55]
 // Cr += Ar*Br
/*  mfmaIndex:313  */
v_mfma_f32_16x16x4_f32 a[148+0:151+0], v[vgprValuB_X1_I0+4+0+0], v[vgprValuA_X1_I0+2+0+0+1], a[148:151]
 // Ci += Ai*Br
/*  mfmaIndex:314  */
v_mfma_f32_16x16x4_f32 a[52+0:55+0], v[vgprValuB_X1_I0+4+0+0+1], v91, a[52:55]
 // Cr += -Ai*Bi
/*  mfmaIndex:315  */
v_mfma_f32_16x16x4_f32 a[148+0:151+0], v[vgprValuB_X1_I0+4+0+0+1], v[vgprValuA_X1_I0+2+0+0], a[148:151]
 // Ci += Ar*Bi
/*  mfmaIndex:316  */
/* sched write - iter 3 writesPerItem=1 */
s_waitcnt vmcnt(0)                                 // lgkmcnt=-1 vmcnt=0wait for global read before writing to local
_ds_store_b64 v[vgprLocalWriteAddrB], v[vgprG2LB+18:vgprG2LB+18+1] offset:19584 // lwoB_0_0_9_0 = (0*LSCB)*(MT1J+PAD) + (9*LSPB) = 19584
v_mfma_f32_16x16x4_f32 a[76+0:79+0], v[vgprValuB_X1_I0+6+0+0], v[vgprValuA_X1_I0+2+0+0], a[76:79]
 // Cr += Ar*Br
/*  mfmaIndex:317  */
_buffer_load_b64 v[vgprG2LB+18:vgprG2LB+18+1], v[vgprGlobalReadOffsetB+0], s[sgprSrdB:sgprSrdB+3], s[sgprScalarGlobalReadOffsetB+8], offen offset:0 // G -> Reg 0_0_9_0
v_mfma_f32_16x16x4_f32 a[172+0:175+0], v[vgprValuB_X1_I0+6+0+0], v[vgprValuA_X1_I0+2+0+0+1], a[172:175]
 // Ci += Ai*Br
/*  mfmaIndex:318  */
v_mfma_f32_16x16x4_f32 a[76+0:79+0], v[vgprValuB_X1_I0+6+0+0+1], v91, a[76:79]
 // Cr += -Ai*Bi
/*  mfmaIndex:319  */
v_mfma_f32_16x16x4_f32 a[172+0:175+0], v[vgprValuB_X1_I0+6+0+0+1], v[vgprValuA_X1_I0+2+0+0], a[172:175]
 // Ci += Ar*Bi
/*  mfmaIndex:320  */
v_add_f32 v91, -v[vgprValuA_X1_I0+4+0+0+1], 0      // Ai=-Ai
v_mfma_f32_16x16x4_f32 a[8+0:11+0], v[vgprValuB_X1_I0+0+0+0], v[vgprValuA_X1_I0+4+0+0], a[8:11]
 // Cr += Ar*Br
/*  mfmaIndex:321  */
v_mfma_f32_16x16x4_f32 a[104+0:107+0], v[vgprValuB_X1_I0+0+0+0], v[vgprValuA_X1_I0+4+0+0+1], a[104:107]
 // Ci += Ai*Br
/*  mfmaIndex:322  */
v_mfma_f32_16x16x4_f32 a[8+0:11+0], v[vgprValuB_X1_I0+0+0+0+1], v91, a[8:11]
 // Cr += -Ai*Bi
/*  mfmaIndex:323  */
v_mfma_f32_16x16x4_f32 a[104+0:107+0], v[vgprValuB_X1_I0+0+0+0+1], v[vgprValuA_X1_I0+4+0+0], a[104:107]
 // Ci += Ar*Bi
/*  mfmaIndex:324  */
v_mfma_f32_16x16x4_f32 a[32+0:35+0], v[vgprValuB_X1_I0+2+0+0], v[vgprValuA_X1_I0+4+0+0], a[32:35]
 // Cr += Ar*Br
/*  mfmaIndex:325  */
/* sched write - iter 3 writesPerItem=1 */
s_waitcnt vmcnt(0)                                 // lgkmcnt=-1 vmcnt=0wait for global read before writing to local
_ds_store_b64 v[vgprLocalWriteAddrB], v[vgprG2LB+20:vgprG2LB+20+1] offset:21760 // lwoB_0_0_10_0 = (0*LSCB)*(MT1J+PAD) + (10*LSPB) = 21760
v_mfma_f32_16x16x4_f32 a[128+0:131+0], v[vgprValuB_X1_I0+2+0+0], v[vgprValuA_X1_I0+4+0+0+1], a[128:131]
 // Ci += Ai*Br
/*  mfmaIndex:326  */
_buffer_load_b64 v[vgprG2LB+20:vgprG2LB+20+1], v[vgprGlobalReadOffsetB+0], s[sgprSrdB:sgprSrdB+3], s[sgprScalarGlobalReadOffsetB+9], offen offset:0 // G -> Reg 0_0_10_0
v_mfma_f32_16x16x4_f32 a[32+0:35+0], v[vgprValuB_X1_I0+2+0+0+1], v91, a[32:35]
 // Cr += -Ai*Bi
/*  mfmaIndex:327  */
v_mfma_f32_16x16x4_f32 a[128+0:131+0], v[vgprValuB_X1_I0+2+0+0+1], v[vgprValuA_X1_I0+4+0+0], a[128:131]
 // Ci += Ar*Bi
/*  mfmaIndex:328  */
v_mfma_f32_16x16x4_f32 a[56+0:59+0], v[vgprValuB_X1_I0+4+0+0], v[vgprValuA_X1_I0+4+0+0], a[56:59]
 // Cr += Ar*Br
/*  mfmaIndex:329  */
v_mfma_f32_16x16x4_f32 a[152+0:155+0], v[vgprValuB_X1_I0+4+0+0], v[vgprValuA_X1_I0+4+0+0+1], a[152:155]
 // Ci += Ai*Br
/*  mfmaIndex:330  */
v_mfma_f32_16x16x4_f32 a[56+0:59+0], v[vgprValuB_X1_I0+4+0+0+1], v91, a[56:59]
 // Cr += -Ai*Bi
/*  mfmaIndex:331  */
v_mfma_f32_16x16x4_f32 a[152+0:155+0], v[vgprValuB_X1_I0+4+0+0+1], v[vgprValuA_X1_I0+4+0+0], a[152:155]
 // Ci += Ar*Bi
/*  mfmaIndex:332  */
v_mfma_f32_16x16x4_f32 a[80+0:83+0], v[vgprValuB_X1_I0+6+0+0], v[vgprValuA_X1_I0+4+0+0], a[80:83]
 // Cr += Ar*Br
/*  mfmaIndex:333  */
v_mfma_f32_16x16x4_f32 a[176+0:179+0], v[vgprValuB_X1_I0+6+0+0], v[vgprValuA_X1_I0+4+0+0+1], a[176:179]
 // Ci += Ai*Br
/*  mfmaIndex:334  */
v_mfma_f32_16x16x4_f32 a[80+0:83+0], v[vgprValuB_X1_I0+6+0+0+1], v91, a[80:83]
 // Cr += -Ai*Bi
/*  mfmaIndex:335  */
/* sched write - iter 3 writesPerItem=1 */
s_waitcnt vmcnt(0)                                 // lgkmcnt=-1 vmcnt=0wait for global read before writing to local
_ds_store_b64 v[vgprLocalWriteAddrB], v[vgprG2LB+22:vgprG2LB+22+1] offset:23936 // lwoB_0_0_11_0 = (0*LSCB)*(MT1J+PAD) + (11*LSPB) = 23936
v_mfma_f32_16x16x4_f32 a[176+0:179+0], v[vgprValuB_X1_I0+6+0+0+1], v[vgprValuA_X1_I0+4+0+0], a[176:179]
 // Ci += Ar*Bi
/*  mfmaIndex:336  */
_buffer_load_b64 v[vgprG2LB+22:vgprG2LB+22+1], v[vgprGlobalReadOffsetB+0], s[sgprSrdB:sgprSrdB+3], s[sgprScalarGlobalReadOffsetB+10], offen offset:0 // G -> Reg 0_0_11_0
v_add_f32 v91, -v[vgprValuA_X1_I0+6+0+0+1], 0      // Ai=-Ai
v_mfma_f32_16x16x4_f32 a[12+0:15+0], v[vgprValuB_X1_I0+0+0+0], v[vgprValuA_X1_I0+6+0+0], a[12:15]
 // Cr += Ar*Br
/*  mfmaIndex:337  */
v_mfma_f32_16x16x4_f32 a[108+0:111+0], v[vgprValuB_X1_I0+0+0+0], v[vgprValuA_X1_I0+6+0+0+1], a[108:111]
 // Ci += Ai*Br
/*  mfmaIndex:338  */
v_mfma_f32_16x16x4_f32 a[12+0:15+0], v[vgprValuB_X1_I0+0+0+0+1], v91, a[12:15]
 // Cr += -Ai*Bi
/*  mfmaIndex:339  */
v_mfma_f32_16x16x4_f32 a[108+0:111+0], v[vgprValuB_X1_I0+0+0+0+1], v[vgprValuA_X1_I0+6+0+0], a[108:111]
 // Ci += Ar*Bi
/*  mfmaIndex:340  */
v_mfma_f32_16x16x4_f32 a[36+0:39+0], v[vgprValuB_X1_I0+2+0+0], v[vgprValuA_X1_I0+6+0+0], a[36:39]
 // Cr += Ar*Br
/*  mfmaIndex:341  */
v_mfma_f32_16x16x4_f32 a[132+0:135+0], v[vgprValuB_X1_I0+2+0+0], v[vgprValuA_X1_I0+6+0+0+1], a[132:135]
 // Ci += Ai*Br
/*  mfmaIndex:342  */
v_mfma_f32_16x16x4_f32 a[36+0:39+0], v[vgprValuB_X1_I0+2+0+0+1], v91, a[36:39]
 // Cr += -Ai*Bi
/*  mfmaIndex:343  */
v_mfma_f32_16x16x4_f32 a[132+0:135+0], v[vgprValuB_X1_I0+2+0+0+1], v[vgprValuA_X1_I0+6+0+0], a[132:135]
 // Ci += Ar*Bi
/*  mfmaIndex:344  */
/* sched write - iter 3 writesPerItem=1 */
s_waitcnt vmcnt(0)                                 // lgkmcnt=-1 vmcnt=0wait for global read before writing to local
_ds_store_b64 v[vgprLocalWriteAddrB], v[vgprG2LB+24:vgprG2LB+24+1] offset:26112 // lwoB_0_0_12_0 = (0*LSCB)*(MT1J+PAD) + (12*LSPB) = 26112
v_mfma_f32_16x16x4_f32 a[60+0:63+0], v[vgprValuB_X1_I0+4+0+0], v[vgprValuA_X1_I0+6+0+0], a[60:63]
 // Cr += Ar*Br
/*  mfmaIndex:345  */
_buffer_load_b64 v[vgprG2LB+24:vgprG2LB+24+1], v[vgprGlobalReadOffsetB+0], s[sgprSrdB:sgprSrdB+3], s[sgprScalarGlobalReadOffsetB+11], offen offset:0 // G -> Reg 0_0_12_0
v_mfma_f32_16x16x4_f32 a[156+0:159+0], v[vgprValuB_X1_I0+4+0+0], v[vgprValuA_X1_I0+6+0+0+1], a[156:159]
 // Ci += Ai*Br
/*  mfmaIndex:346  */
v_mfma_f32_16x16x4_f32 a[60+0:63+0], v[vgprValuB_X1_I0+4+0+0+1], v91, a[60:63]
 // Cr += -Ai*Bi
/*  mfmaIndex:347  */
v_mfma_f32_16x16x4_f32 a[156+0:159+0], v[vgprValuB_X1_I0+4+0+0+1], v[vgprValuA_X1_I0+6+0+0], a[156:159]
 // Ci += Ar*Bi
/*  mfmaIndex:348  */
v_mfma_f32_16x16x4_f32 a[84+0:87+0], v[vgprValuB_X1_I0+6+0+0], v[vgprValuA_X1_I0+6+0+0], a[84:87]
 // Cr += Ar*Br
/*  mfmaIndex:349  */
v_mfma_f32_16x16x4_f32 a[180+0:183+0], v[vgprValuB_X1_I0+6+0+0], v[vgprValuA_X1_I0+6+0+0+1], a[180:183]
 // Ci += Ai*Br
/*  mfmaIndex:350  */
v_mfma_f32_16x16x4_f32 a[84+0:87+0], v[vgprValuB_X1_I0+6+0+0+1], v91, a[84:87]
 // Cr += -Ai*Bi
/*  mfmaIndex:351  */
v_mfma_f32_16x16x4_f32 a[180+0:183+0], v[vgprValuB_X1_I0+6+0+0+1], v[vgprValuA_X1_I0+6+0+0], a[180:183]
 // Ci += Ar*Bi
/*  mfmaIndex:352  */
v_add_f32 v91, -v[vgprValuA_X1_I0+8+0+0+1], 0      // Ai=-Ai
v_mfma_f32_16x16x4_f32 a[16+0:19+0], v[vgprValuB_X1_I0+0+0+0], v[vgprValuA_X1_I0+8+0+0], a[16:19]
 // Cr += Ar*Br
/*  mfmaIndex:353  */
v_mfma_f32_16x16x4_f32 a[112+0:115+0], v[vgprValuB_X1_I0+0+0+0], v[vgprValuA_X1_I0+8+0+0+1], a[112:115]
 // Ci += Ai*Br
/*  mfmaIndex:354  */
/* sched write - iter 3 writesPerItem=1 */
s_waitcnt vmcnt(0)                                 // lgkmcnt=-1 vmcnt=0wait for global read before writing to local
_ds_store_b64 v[vgprLocalWriteAddrB], v[vgprG2LB+26:vgprG2LB+26+1] offset:28288 // lwoB_0_0_13_0 = (0*LSCB)*(MT1J+PAD) + (13*LSPB) = 28288
v_mfma_f32_16x16x4_f32 a[16+0:19+0], v[vgprValuB_X1_I0+0+0+0+1], v91, a[16:19]
 // Cr += -Ai*Bi
/*  mfmaIndex:355  */
_buffer_load_b64 v[vgprG2LB+26:vgprG2LB+26+1], v[vgprGlobalReadOffsetB+0], s[sgprSrdB:sgprSrdB+3], s[sgprScalarGlobalReadOffsetB+12], offen offset:0 // G -> Reg 0_0_13_0
v_mfma_f32_16x16x4_f32 a[112+0:115+0], v[vgprValuB_X1_I0+0+0+0+1], v[vgprValuA_X1_I0+8+0+0], a[112:115]
 // Ci += Ar*Bi
/*  mfmaIndex:356  */
v_mfma_f32_16x16x4_f32 a[40+0:43+0], v[vgprValuB_X1_I0+2+0+0], v[vgprValuA_X1_I0+8+0+0], a[40:43]
 // Cr += Ar*Br
/*  mfmaIndex:357  */
v_mfma_f32_16x16x4_f32 a[136+0:139+0], v[vgprValuB_X1_I0+2+0+0], v[vgprValuA_X1_I0+8+0+0+1], a[136:139]
 // Ci += Ai*Br
/*  mfmaIndex:358  */
v_mfma_f32_16x16x4_f32 a[40+0:43+0], v[vgprValuB_X1_I0+2+0+0+1], v91, a[40:43]
 // Cr += -Ai*Bi
/*  mfmaIndex:359  */
v_mfma_f32_16x16x4_f32 a[136+0:139+0], v[vgprValuB_X1_I0+2+0+0+1], v[vgprValuA_X1_I0+8+0+0], a[136:139]
 // Ci += Ar*Bi
/*  mfmaIndex:360  */
v_mfma_f32_16x16x4_f32 a[64+0:67+0], v[vgprValuB_X1_I0+4+0+0], v[vgprValuA_X1_I0+8+0+0], a[64:67]
 // Cr += Ar*Br
/*  mfmaIndex:361  */
v_mfma_f32_16x16x4_f32 a[160+0:163+0], v[vgprValuB_X1_I0+4+0+0], v[vgprValuA_X1_I0+8+0+0+1], a[160:163]
 // Ci += Ai*Br
/*  mfmaIndex:362  */
v_mfma_f32_16x16x4_f32 a[64+0:67+0], v[vgprValuB_X1_I0+4+0+0+1], v91, a[64:67]
 // Cr += -Ai*Bi
/*  mfmaIndex:363  */
/* sched write - iter 3 writesPerItem=1 */
s_waitcnt vmcnt(0)                                 // lgkmcnt=-1 vmcnt=0wait for global read before writing to local
_ds_store_b64 v[vgprLocalWriteAddrB], v[vgprG2LB+28:vgprG2LB+28+1] offset:30464 // lwoB_0_0_14_0 = (0*LSCB)*(MT1J+PAD) + (14*LSPB) = 30464
v_mfma_f32_16x16x4_f32 a[160+0:163+0], v[vgprValuB_X1_I0+4+0+0+1], v[vgprValuA_X1_I0+8+0+0], a[160:163]
 // Ci += Ar*Bi
/*  mfmaIndex:364  */
_buffer_load_b64 v[vgprG2LB+28:vgprG2LB+28+1], v[vgprGlobalReadOffsetB+0], s[sgprSrdB:sgprSrdB+3], s[sgprScalarGlobalReadOffsetB+13], offen offset:0 // G -> Reg 0_0_14_0
v_mfma_f32_16x16x4_f32 a[88+0:91+0], v[vgprValuB_X1_I0+6+0+0], v[vgprValuA_X1_I0+8+0+0], a[88:91]
 // Cr += Ar*Br
/*  mfmaIndex:365  */
v_mfma_f32_16x16x4_f32 a[184+0:187+0], v[vgprValuB_X1_I0+6+0+0], v[vgprValuA_X1_I0+8+0+0+1], a[184:187]
 // Ci += Ai*Br
/*  mfmaIndex:366  */
v_mfma_f32_16x16x4_f32 a[88+0:91+0], v[vgprValuB_X1_I0+6+0+0+1], v91, a[88:91]
 // Cr += -Ai*Bi
/*  mfmaIndex:367  */
v_mfma_f32_16x16x4_f32 a[184+0:187+0], v[vgprValuB_X1_I0+6+0+0+1], v[vgprValuA_X1_I0+8+0+0], a[184:187]
 // Ci += Ar*Bi
/*  mfmaIndex:368  */
v_add_f32 v91, -v[vgprValuA_X1_I0+10+0+0+1], 0     // Ai=-Ai
v_mfma_f32_16x16x4_f32 a[20+0:23+0], v[vgprValuB_X1_I0+0+0+0], v[vgprValuA_X1_I0+10+0+0], a[20:23]
 // Cr += Ar*Br
/*  mfmaIndex:369  */
v_mfma_f32_16x16x4_f32 a[116+0:119+0], v[vgprValuB_X1_I0+0+0+0], v[vgprValuA_X1_I0+10+0+0+1], a[116:119]
 // Ci += Ai*Br
/*  mfmaIndex:370  */
v_mfma_f32_16x16x4_f32 a[20+0:23+0], v[vgprValuB_X1_I0+0+0+0+1], v91, a[20:23]
 // Cr += -Ai*Bi
/*  mfmaIndex:371  */
v_mfma_f32_16x16x4_f32 a[116+0:119+0], v[vgprValuB_X1_I0+0+0+0+1], v[vgprValuA_X1_I0+10+0+0], a[116:119]
 // Ci += Ar*Bi
/*  mfmaIndex:372  */
v_mfma_f32_16x16x4_f32 a[44+0:47+0], v[vgprValuB_X1_I0+2+0+0], v[vgprValuA_X1_I0+10+0+0], a[44:47]
 // Cr += Ar*Br
/*  mfmaIndex:373  */
/* sched write - iter 3 writesPerItem=1 */
s_waitcnt vmcnt(0)                                 // lgkmcnt=-1 vmcnt=0wait for global read before writing to local
_ds_store_b64 v[vgprLocalWriteAddrB], v[vgprG2LB+30:vgprG2LB+30+1] offset:32640 // lwoB_0_0_15_0 = (0*LSCB)*(MT1J+PAD) + (15*LSPB) = 32640
v_mfma_f32_16x16x4_f32 a[140+0:143+0], v[vgprValuB_X1_I0+2+0+0], v[vgprValuA_X1_I0+10+0+0+1], a[140:143]
 // Ci += Ai*Br
/*  mfmaIndex:374  */
_buffer_load_b64 v[vgprG2LB+30:vgprG2LB+30+1], v[vgprGlobalReadOffsetB+0], s[sgprSrdB:sgprSrdB+3], s[sgprScalarGlobalReadOffsetB+14], offen offset:0 // G -> Reg 0_0_15_0

/* local write swap offsets a */

/* local write swap offsets b */
v_mfma_f32_16x16x4_f32 a[44+0:47+0], v[vgprValuB_X1_I0+2+0+0+1], v91, a[44:47]
 // Cr += -Ai*Bi
/*  mfmaIndex:375  */
v_mfma_f32_16x16x4_f32 a[140+0:143+0], v[vgprValuB_X1_I0+2+0+0+1], v[vgprValuA_X1_I0+10+0+0], a[140:143]
 // Ci += Ar*Bi
/*  mfmaIndex:376  */
s_waitcnt lgkmcnt(0)                               // lgkmcnt=0 vmcnt=-13wait for local write
// Skip force waitcnt0
s_barrier //
v_mfma_f32_16x16x4_f32 a[68+0:71+0], v[vgprValuB_X1_I0+4+0+0], v[vgprValuA_X1_I0+10+0+0], a[68:71]
 // Cr += Ar*Br
/*  mfmaIndex:377  */
_ds_load_b64 v[vgprValuA_X0_I0+0:vgprValuA_X0_I0+0+1], v[vgprLocalReadAddrA] offset:0 // L -> Reg lro=0 swapByteOffset=0 ti=32 vIdx=0 rIdx=0 oIdx=0 buffer=0 iui=0
_ds_load_b64 v[vgprValuB_X0_I0+0:vgprValuB_X0_I0+0+1], v[vgprLocalReadAddrB] offset:0 // L -> Reg lro=0 swapByteOffset=0 ti=64 vIdx=0 rIdx=0 oIdx=0 buffer=0 iui=0
v_mfma_f32_16x16x4_f32 a[164+0:167+0], v[vgprValuB_X1_I0+4+0+0], v[vgprValuA_X1_I0+10+0+0+1], a[164:167]
 // Ci += Ai*Br
/*  mfmaIndex:378  */
_ds_load_b64 v[vgprValuA_X0_I0+2:vgprValuA_X0_I0+2+1], v[vgprLocalReadAddrA] offset:8 // L -> Reg lro=0 swapByteOffset=0 ti=32 vIdx=0 rIdx=0 oIdx=0 buffer=0 iui=0
_ds_load_b64 v[vgprValuA_X0_I0+4:vgprValuA_X0_I0+4+1], v[vgprLocalReadAddrA] offset:256 // L -> Reg lro=0 swapByteOffset=0 ti=32 vIdx=1 rIdx=0 oIdx=0 buffer=0 iui=0
v_mfma_f32_16x16x4_f32 a[68+0:71+0], v[vgprValuB_X1_I0+4+0+0+1], v91, a[68:71]
 // Cr += -Ai*Bi
/*  mfmaIndex:379  */
_ds_load_b64 v[vgprValuA_X0_I0+6:vgprValuA_X0_I0+6+1], v[vgprLocalReadAddrA] offset:264 // L -> Reg lro=0 swapByteOffset=0 ti=32 vIdx=1 rIdx=0 oIdx=0 buffer=0 iui=0
_ds_load_b64 v[vgprValuA_X0_I0+8:vgprValuA_X0_I0+8+1], v[vgprLocalReadAddrA] offset:512 // L -> Reg lro=0 swapByteOffset=0 ti=32 vIdx=2 rIdx=0 oIdx=0 buffer=0 iui=0
v_mfma_f32_16x16x4_f32 a[164+0:167+0], v[vgprValuB_X1_I0+4+0+0+1], v[vgprValuA_X1_I0+10+0+0], a[164:167]
 // Ci += Ar*Bi
/*  mfmaIndex:380  */
_ds_load_b64 v[vgprValuA_X0_I0+10:vgprValuA_X0_I0+10+1], v[vgprLocalReadAddrA] offset:520 // L -> Reg lro=0 swapByteOffset=0 ti=32 vIdx=2 rIdx=0 oIdx=0 buffer=0 iui=0
_ds_load_b64 v[vgprValuB_X0_I0+2:vgprValuB_X0_I0+2+1], v[vgprLocalReadAddrB] offset:8704 // L -> Reg lro=0 swapByteOffset=0 ti=64 vIdx=1 rIdx=0 oIdx=0 buffer=0 iui=0
v_mfma_f32_16x16x4_f32 a[92+0:95+0], v[vgprValuB_X1_I0+6+0+0], v[vgprValuA_X1_I0+10+0+0], a[92:95]
 // Cr += Ar*Br
/*  mfmaIndex:381  */
_ds_load_b64 v[vgprValuB_X0_I0+4:vgprValuB_X0_I0+4+1], v[vgprLocalReadAddrB] offset:17408 // L -> Reg lro=0 swapByteOffset=0 ti=64 vIdx=2 rIdx=0 oIdx=0 buffer=0 iui=0
_ds_load_b64 v[vgprValuB_X0_I0+6:vgprValuB_X0_I0+6+1], v[vgprLocalReadAddrB] offset:26112 // L -> Reg lro=0 swapByteOffset=0 ti=64 vIdx=3 rIdx=0 oIdx=0 buffer=0 iui=0
v_mfma_f32_16x16x4_f32 a[188+0:191+0], v[vgprValuB_X1_I0+6+0+0], v[vgprValuA_X1_I0+10+0+0+1], a[188:191]
 // Ci += Ai*Br
/*  mfmaIndex:382  */
v_mfma_f32_16x16x4_f32 a[92+0:95+0], v[vgprValuB_X1_I0+6+0+0+1], v91, a[92:95]
 // Cr += -Ai*Bi
/*  mfmaIndex:383  */
v_mfma_f32_16x16x4_f32 a[188+0:191+0], v[vgprValuB_X1_I0+6+0+0+1], v[vgprValuA_X1_I0+10+0+0], a[188:191]
 // Ci += Ar*Bi
/* numPrefetchIter=1 */
/* dataAtIterA=2 numReadsIterA=3 skipReadsIterA=1 readsPerIterA=6 */
/* dataAtIterB=2 numReadsIterB=3 skipReadsIterB=1 readsPerIterB=4 */


/******************************************/
/* Unrolled Loop - End 2/2 (final)        */
/******************************************/


/* closeLoop loopL finalLoop=1 tailLoop=0 */
s_sub_u32 s[sgprLoopCounterL], s[sgprLoopCounterL], 1 // dec counterL
s_cmp_eq_i32 s[sgprLoopCounterL], 0x2              // counterL==2
s_cbranch_scc0 LoopBeginL_1                        // restart LoopL
LoopEndL_evenexit_4: // unroll loop eveniter exit
s_branch LoopEndL_2                                // exit unroll loopL (and skip second exit code)
LoopEndL_oddexit_3: // unroll loop odditer exit

/* Select high bank of LDS */
LoopEndL_2:


/* Before NLL: Check VGPR.checkin for INT8 LW */


/******************************************/
/* Ord. NoGlobalLoadLoop - Begin                                      */
/******************************************/


	;; [unrolled: 1-line block ×3, first 2 shown]
/* iter 0 */

/*  grEndMfmaIndex:4, lwStartMfmaIndex:202, lwEndMfmaIndex:374  */
/*  numMfmaForLR:7, barrierMfmaIndex:376, LocalWritePerMfma:0.105 */
/*  mfmaIndex:0  */
s_waitcnt lgkmcnt(0)                               // lgkmcnt=0 vmcnt=-1wait for prior local read local write old=0, new=0 newLW=0 newLR=0
v_add_f32 v91, -v[vgprValuA_X0_I0+0+0+0+1], 0      // Ai=-Ai
v_mfma_f32_16x16x4_f32 a[0+0:3+0], v[vgprValuB_X0_I0+0+0+0], v[vgprValuA_X0_I0+0+0+0], a[0:3]
 // Cr += Ar*Br
/*  mfmaIndex:1  */
_ds_load_b64 v[vgprValuA_X1_I0+0:vgprValuA_X1_I0+0+1], v[vgprLocalReadAddrA] offset:3072 // L -> Reg lro=384 swapByteOffset=0 ti=32 vIdx=0 rIdx=0 oIdx=0 buffer=1 iui=0
_ds_load_b64 v[vgprValuB_X1_I0+0:vgprValuB_X1_I0+0+1], v[vgprLocalReadAddrB] offset:32 // L -> Reg lro=4 swapByteOffset=0 ti=64 vIdx=0 rIdx=0 oIdx=0 buffer=1 iui=0

/* global read inc A loopL */
s_add_u32 s[sgprSrdA+0], s[sgprSrdA+0], s[sgprGlobalReadIncsA+0] // gra SRD += inc(lower)
s_addc_u32  s[sgprSrdA+1], s[sgprSrdA+1], 0        // gra SRD += inc(upper)
s_sub_u32 s[sgprShadowLimitA+0], s[sgprShadowLimitA+0], s[sgprGlobalReadIncsA+0] // limit -= inc)
v_mfma_f32_16x16x4_f32 a[96+0:99+0], v[vgprValuB_X0_I0+0+0+0], v[vgprValuA_X0_I0+0+0+0+1], a[96:99]
 // Ci += Ai*Br
/*  mfmaIndex:2  */
_ds_load_b64 v[vgprValuA_X1_I0+2:vgprValuA_X1_I0+2+1], v[vgprLocalReadAddrA] offset:3080 // L -> Reg lro=384 swapByteOffset=0 ti=32 vIdx=0 rIdx=0 oIdx=0 buffer=1 iui=0
_ds_load_b64 v[vgprValuA_X1_I0+4:vgprValuA_X1_I0+4+1], v[vgprLocalReadAddrA] offset:3328 // L -> Reg lro=384 swapByteOffset=0 ti=32 vIdx=1 rIdx=0 oIdx=0 buffer=1 iui=0
s_subb_u32 s[sgprShadowLimitA+1], s[sgprShadowLimitA+1], 0 // limit -= inc)
s_cmp_eq_u32 s[sgprShadowLimitA+1], 0              // are we within 2^32?
s_cmov_b32 s[sgprSrdA+2], s[sgprShadowLimitA+0]    // Move shadow to real if we are within 2^32
v_mfma_f32_16x16x4_f32 a[0+0:3+0], v[vgprValuB_X0_I0+0+0+0+1], v91, a[0:3]
 // Cr += -Ai*Bi
/*  mfmaIndex:3  */
_ds_load_b64 v[vgprValuA_X1_I0+6:vgprValuA_X1_I0+6+1], v[vgprLocalReadAddrA] offset:3336 // L -> Reg lro=384 swapByteOffset=0 ti=32 vIdx=1 rIdx=0 oIdx=0 buffer=1 iui=0
_ds_load_b64 v[vgprValuA_X1_I0+8:vgprValuA_X1_I0+8+1], v[vgprLocalReadAddrA] offset:3584 // L -> Reg lro=384 swapByteOffset=0 ti=32 vIdx=2 rIdx=0 oIdx=0 buffer=1 iui=0

/* global read inc B loopL */
s_add_u32 s[sgprSrdB+0], s[sgprSrdB+0], s[sgprGlobalReadIncsB+0] // gra SRD += inc(lower)
s_addc_u32  s[sgprSrdB+1], s[sgprSrdB+1], 0        // gra SRD += inc(upper)
s_sub_u32 s[sgprShadowLimitB+0], s[sgprShadowLimitB+0], s[sgprGlobalReadIncsB+0] // limit -= inc)
v_mfma_f32_16x16x4_f32 a[96+0:99+0], v[vgprValuB_X0_I0+0+0+0+1], v[vgprValuA_X0_I0+0+0+0], a[96:99]
 // Ci += Ar*Bi
/*  mfmaIndex:4  */
_ds_load_b64 v[vgprValuA_X1_I0+10:vgprValuA_X1_I0+10+1], v[vgprLocalReadAddrA] offset:3592 // L -> Reg lro=384 swapByteOffset=0 ti=32 vIdx=2 rIdx=0 oIdx=0 buffer=1 iui=0
_ds_load_b64 v[vgprValuB_X1_I0+2:vgprValuB_X1_I0+2+1], v[vgprLocalReadAddrB] offset:8736 // L -> Reg lro=4 swapByteOffset=0 ti=64 vIdx=1 rIdx=0 oIdx=0 buffer=1 iui=0
s_subb_u32 s[sgprShadowLimitB+1], s[sgprShadowLimitB+1], 0 // limit -= inc)
s_cmp_eq_u32 s[sgprShadowLimitB+1], 0              // are we within 2^32?
s_cmov_b32 s[sgprSrdB+2], s[sgprShadowLimitB+0]    // Move shadow to real if we are within 2^32
v_mfma_f32_16x16x4_f32 a[24+0:27+0], v[vgprValuB_X0_I0+2+0+0], v[vgprValuA_X0_I0+0+0+0], a[24:27]
 // Cr += Ar*Br
/*  mfmaIndex:5  */
_ds_load_b64 v[vgprValuB_X1_I0+4:vgprValuB_X1_I0+4+1], v[vgprLocalReadAddrB] offset:17440 // L -> Reg lro=4 swapByteOffset=0 ti=64 vIdx=2 rIdx=0 oIdx=0 buffer=1 iui=0
_ds_load_b64 v[vgprValuB_X1_I0+6:vgprValuB_X1_I0+6+1], v[vgprLocalReadAddrB] offset:26144 // L -> Reg lro=4 swapByteOffset=0 ti=64 vIdx=3 rIdx=0 oIdx=0 buffer=1 iui=0
/* localReadsVacancy: latencyLeft 1 */
v_mfma_f32_16x16x4_f32 a[120+0:123+0], v[vgprValuB_X0_I0+2+0+0], v[vgprValuA_X0_I0+0+0+0+1], a[120:123]
 // Ci += Ai*Br
/*  mfmaIndex:6  */
/* localReadsVacancy: latencyLeft 5 */
v_mfma_f32_16x16x4_f32 a[24+0:27+0], v[vgprValuB_X0_I0+2+0+0+1], v91, a[24:27]
 // Cr += -Ai*Bi
/*  mfmaIndex:7  */
/* localReadsVacancy: latencyLeft 5 */
v_mfma_f32_16x16x4_f32 a[120+0:123+0], v[vgprValuB_X0_I0+2+0+0+1], v[vgprValuA_X0_I0+0+0+0], a[120:123]
 // Ci += Ar*Bi
/*  mfmaIndex:8  */
/* localReadsVacancy: latencyLeft 5 */
v_mfma_f32_16x16x4_f32 a[48+0:51+0], v[vgprValuB_X0_I0+4+0+0], v[vgprValuA_X0_I0+0+0+0], a[48:51]
 // Cr += Ar*Br
/*  mfmaIndex:9  */
/* localReadsVacancy: latencyLeft 5 */
v_mfma_f32_16x16x4_f32 a[144+0:147+0], v[vgprValuB_X0_I0+4+0+0], v[vgprValuA_X0_I0+0+0+0+1], a[144:147]
 // Ci += Ai*Br
/*  mfmaIndex:10  */
/* localReadsVacancy: latencyLeft 5 */
v_mfma_f32_16x16x4_f32 a[48+0:51+0], v[vgprValuB_X0_I0+4+0+0+1], v91, a[48:51]
 // Cr += -Ai*Bi
/*  mfmaIndex:11  */
/* localReadsVacancy: latencyLeft 5 */
v_mfma_f32_16x16x4_f32 a[144+0:147+0], v[vgprValuB_X0_I0+4+0+0+1], v[vgprValuA_X0_I0+0+0+0], a[144:147]
 // Ci += Ar*Bi
/*  mfmaIndex:12  */
/* localReadsVacancy: latencyLeft 5 */
v_mfma_f32_16x16x4_f32 a[72+0:75+0], v[vgprValuB_X0_I0+6+0+0], v[vgprValuA_X0_I0+0+0+0], a[72:75]
 // Cr += Ar*Br
/*  mfmaIndex:13  */
/* localReadsVacancy: latencyLeft 5 */
v_mfma_f32_16x16x4_f32 a[168+0:171+0], v[vgprValuB_X0_I0+6+0+0], v[vgprValuA_X0_I0+0+0+0+1], a[168:171]
 // Ci += Ai*Br
/*  mfmaIndex:14  */
/* localReadsVacancy: latencyLeft 5 */
v_mfma_f32_16x16x4_f32 a[72+0:75+0], v[vgprValuB_X0_I0+6+0+0+1], v91, a[72:75]
 // Cr += -Ai*Bi
/*  mfmaIndex:15  */
/* localReadsVacancy: latencyLeft 5 */
v_mfma_f32_16x16x4_f32 a[168+0:171+0], v[vgprValuB_X0_I0+6+0+0+1], v[vgprValuA_X0_I0+0+0+0], a[168:171]
 // Ci += Ar*Bi
/*  mfmaIndex:16  */
/* localReadsVacancy: latencyLeft 5 */
v_add_f32 v91, -v[vgprValuA_X0_I0+2+0+0+1], 0      // Ai=-Ai
v_mfma_f32_16x16x4_f32 a[4+0:7+0], v[vgprValuB_X0_I0+0+0+0], v[vgprValuA_X0_I0+2+0+0], a[4:7]
 // Cr += Ar*Br
/*  mfmaIndex:17  */
/* localReadsVacancy: latencyLeft 5 */
v_mfma_f32_16x16x4_f32 a[100+0:103+0], v[vgprValuB_X0_I0+0+0+0], v[vgprValuA_X0_I0+2+0+0+1], a[100:103]
 // Ci += Ai*Br
/*  mfmaIndex:18  */
/* localReadsVacancy: latencyLeft 5 */
v_mfma_f32_16x16x4_f32 a[4+0:7+0], v[vgprValuB_X0_I0+0+0+0+1], v91, a[4:7]
 // Cr += -Ai*Bi
/*  mfmaIndex:19  */
/* localReadsVacancy: latencyLeft 5 */
v_mfma_f32_16x16x4_f32 a[100+0:103+0], v[vgprValuB_X0_I0+0+0+0+1], v[vgprValuA_X0_I0+2+0+0], a[100:103]
 // Ci += Ar*Bi
/*  mfmaIndex:20  */
/* localReadsVacancy: latencyLeft 5 */
v_mfma_f32_16x16x4_f32 a[28+0:31+0], v[vgprValuB_X0_I0+2+0+0], v[vgprValuA_X0_I0+2+0+0], a[28:31]
 // Cr += Ar*Br
/*  mfmaIndex:21  */
/* localReadsVacancy: latencyLeft 5 */
v_mfma_f32_16x16x4_f32 a[124+0:127+0], v[vgprValuB_X0_I0+2+0+0], v[vgprValuA_X0_I0+2+0+0+1], a[124:127]
 // Ci += Ai*Br
/*  mfmaIndex:22  */
/* localReadsVacancy: latencyLeft 5 */
v_mfma_f32_16x16x4_f32 a[28+0:31+0], v[vgprValuB_X0_I0+2+0+0+1], v91, a[28:31]
 // Cr += -Ai*Bi
/*  mfmaIndex:23  */
/* localReadsVacancy: latencyLeft 5 */
v_mfma_f32_16x16x4_f32 a[124+0:127+0], v[vgprValuB_X0_I0+2+0+0+1], v[vgprValuA_X0_I0+2+0+0], a[124:127]
 // Ci += Ar*Bi
/*  mfmaIndex:24  */
/* localReadsVacancy: latencyLeft 5 */
	;; [unrolled: 16-line block ×4, first 2 shown]
v_add_f32 v91, -v[vgprValuA_X0_I0+4+0+0+1], 0      // Ai=-Ai
v_mfma_f32_16x16x4_f32 a[8+0:11+0], v[vgprValuB_X0_I0+0+0+0], v[vgprValuA_X0_I0+4+0+0], a[8:11]
 // Cr += Ar*Br
/*  mfmaIndex:33  */
/* localReadsVacancy: latencyLeft 5 */
v_mfma_f32_16x16x4_f32 a[104+0:107+0], v[vgprValuB_X0_I0+0+0+0], v[vgprValuA_X0_I0+4+0+0+1], a[104:107]
 // Ci += Ai*Br
/*  mfmaIndex:34  */
/* localReadsVacancy: latencyLeft 5 */
v_mfma_f32_16x16x4_f32 a[8+0:11+0], v[vgprValuB_X0_I0+0+0+0+1], v91, a[8:11]
 // Cr += -Ai*Bi
/*  mfmaIndex:35  */
/* localReadsVacancy: latencyLeft 5 */
v_mfma_f32_16x16x4_f32 a[104+0:107+0], v[vgprValuB_X0_I0+0+0+0+1], v[vgprValuA_X0_I0+4+0+0], a[104:107]
 // Ci += Ar*Bi
/*  mfmaIndex:36  */
/* localReadsVacancy: latencyLeft 5 */
v_mfma_f32_16x16x4_f32 a[32+0:35+0], v[vgprValuB_X0_I0+2+0+0], v[vgprValuA_X0_I0+4+0+0], a[32:35]
 // Cr += Ar*Br
/*  mfmaIndex:37  */
/* localReadsVacancy: latencyLeft 5 */
v_mfma_f32_16x16x4_f32 a[128+0:131+0], v[vgprValuB_X0_I0+2+0+0], v[vgprValuA_X0_I0+4+0+0+1], a[128:131]
 // Ci += Ai*Br
/*  mfmaIndex:38  */
/* localReadsVacancy: latencyLeft 5 */
v_mfma_f32_16x16x4_f32 a[32+0:35+0], v[vgprValuB_X0_I0+2+0+0+1], v91, a[32:35]
 // Cr += -Ai*Bi
/*  mfmaIndex:39  */
/* localReadsVacancy: latencyLeft 5 */
v_mfma_f32_16x16x4_f32 a[128+0:131+0], v[vgprValuB_X0_I0+2+0+0+1], v[vgprValuA_X0_I0+4+0+0], a[128:131]
 // Ci += Ar*Bi
/*  mfmaIndex:40  */
/* localReadsVacancy: latencyLeft 5 */
	;; [unrolled: 16-line block ×4, first 2 shown]
v_add_f32 v91, -v[vgprValuA_X0_I0+6+0+0+1], 0      // Ai=-Ai
v_mfma_f32_16x16x4_f32 a[12+0:15+0], v[vgprValuB_X0_I0+0+0+0], v[vgprValuA_X0_I0+6+0+0], a[12:15]
 // Cr += Ar*Br
/*  mfmaIndex:49  */
/* localReadsVacancy: latencyLeft 5 */
v_mfma_f32_16x16x4_f32 a[108+0:111+0], v[vgprValuB_X0_I0+0+0+0], v[vgprValuA_X0_I0+6+0+0+1], a[108:111]
 // Ci += Ai*Br
/*  mfmaIndex:50  */
/* localReadsVacancy: latencyLeft 5 */
v_mfma_f32_16x16x4_f32 a[12+0:15+0], v[vgprValuB_X0_I0+0+0+0+1], v91, a[12:15]
 // Cr += -Ai*Bi
/*  mfmaIndex:51  */
/* localReadsVacancy: latencyLeft 5 */
v_mfma_f32_16x16x4_f32 a[108+0:111+0], v[vgprValuB_X0_I0+0+0+0+1], v[vgprValuA_X0_I0+6+0+0], a[108:111]
 // Ci += Ar*Bi
/*  mfmaIndex:52  */
/* localReadsVacancy: latencyLeft 5 */
v_mfma_f32_16x16x4_f32 a[36+0:39+0], v[vgprValuB_X0_I0+2+0+0], v[vgprValuA_X0_I0+6+0+0], a[36:39]
 // Cr += Ar*Br
/*  mfmaIndex:53  */
/* localReadsVacancy: latencyLeft 5 */
v_mfma_f32_16x16x4_f32 a[132+0:135+0], v[vgprValuB_X0_I0+2+0+0], v[vgprValuA_X0_I0+6+0+0+1], a[132:135]
 // Ci += Ai*Br
/*  mfmaIndex:54  */
/* localReadsVacancy: latencyLeft 5 */
v_mfma_f32_16x16x4_f32 a[36+0:39+0], v[vgprValuB_X0_I0+2+0+0+1], v91, a[36:39]
 // Cr += -Ai*Bi
/*  mfmaIndex:55  */
/* localReadsVacancy: latencyLeft 5 */
v_mfma_f32_16x16x4_f32 a[132+0:135+0], v[vgprValuB_X0_I0+2+0+0+1], v[vgprValuA_X0_I0+6+0+0], a[132:135]
 // Ci += Ar*Bi
/*  mfmaIndex:56  */
/* localReadsVacancy: latencyLeft 5 */
	;; [unrolled: 16-line block ×4, first 2 shown]
v_add_f32 v91, -v[vgprValuA_X0_I0+8+0+0+1], 0      // Ai=-Ai
v_mfma_f32_16x16x4_f32 a[16+0:19+0], v[vgprValuB_X0_I0+0+0+0], v[vgprValuA_X0_I0+8+0+0], a[16:19]
 // Cr += Ar*Br
/*  mfmaIndex:65  */
/* localReadsVacancy: latencyLeft 5 */
v_mfma_f32_16x16x4_f32 a[112+0:115+0], v[vgprValuB_X0_I0+0+0+0], v[vgprValuA_X0_I0+8+0+0+1], a[112:115]
 // Ci += Ai*Br
/*  mfmaIndex:66  */
/* localReadsVacancy: latencyLeft 5 */
v_mfma_f32_16x16x4_f32 a[16+0:19+0], v[vgprValuB_X0_I0+0+0+0+1], v91, a[16:19]
 // Cr += -Ai*Bi
/*  mfmaIndex:67  */
/* localReadsVacancy: latencyLeft 5 */
v_mfma_f32_16x16x4_f32 a[112+0:115+0], v[vgprValuB_X0_I0+0+0+0+1], v[vgprValuA_X0_I0+8+0+0], a[112:115]
 // Ci += Ar*Bi
/*  mfmaIndex:68  */
/* localReadsVacancy: latencyLeft 5 */
v_mfma_f32_16x16x4_f32 a[40+0:43+0], v[vgprValuB_X0_I0+2+0+0], v[vgprValuA_X0_I0+8+0+0], a[40:43]
 // Cr += Ar*Br
/*  mfmaIndex:69  */
/* localReadsVacancy: latencyLeft 5 */
v_mfma_f32_16x16x4_f32 a[136+0:139+0], v[vgprValuB_X0_I0+2+0+0], v[vgprValuA_X0_I0+8+0+0+1], a[136:139]
 // Ci += Ai*Br
/*  mfmaIndex:70  */
/* localReadsVacancy: latencyLeft 5 */
v_mfma_f32_16x16x4_f32 a[40+0:43+0], v[vgprValuB_X0_I0+2+0+0+1], v91, a[40:43]
 // Cr += -Ai*Bi
/*  mfmaIndex:71  */
/* localReadsVacancy: latencyLeft 5 */
v_mfma_f32_16x16x4_f32 a[136+0:139+0], v[vgprValuB_X0_I0+2+0+0+1], v[vgprValuA_X0_I0+8+0+0], a[136:139]
 // Ci += Ar*Bi
/*  mfmaIndex:72  */
/* localReadsVacancy: latencyLeft 5 */
	;; [unrolled: 16-line block ×4, first 2 shown]
v_add_f32 v91, -v[vgprValuA_X0_I0+10+0+0+1], 0     // Ai=-Ai
v_mfma_f32_16x16x4_f32 a[20+0:23+0], v[vgprValuB_X0_I0+0+0+0], v[vgprValuA_X0_I0+10+0+0], a[20:23]
 // Cr += Ar*Br
/*  mfmaIndex:81  */
/* localReadsVacancy: latencyLeft 5 */
v_mfma_f32_16x16x4_f32 a[116+0:119+0], v[vgprValuB_X0_I0+0+0+0], v[vgprValuA_X0_I0+10+0+0+1], a[116:119]
 // Ci += Ai*Br
/*  mfmaIndex:82  */
/* localReadsVacancy: latencyLeft 5 */
v_mfma_f32_16x16x4_f32 a[20+0:23+0], v[vgprValuB_X0_I0+0+0+0+1], v91, a[20:23]
 // Cr += -Ai*Bi
/*  mfmaIndex:83  */
/* localReadsVacancy: latencyLeft 5 */
v_mfma_f32_16x16x4_f32 a[116+0:119+0], v[vgprValuB_X0_I0+0+0+0+1], v[vgprValuA_X0_I0+10+0+0], a[116:119]
 // Ci += Ar*Bi
/*  mfmaIndex:84  */
/* localReadsVacancy: latencyLeft 5 */
v_mfma_f32_16x16x4_f32 a[44+0:47+0], v[vgprValuB_X0_I0+2+0+0], v[vgprValuA_X0_I0+10+0+0], a[44:47]
 // Cr += Ar*Br
/*  mfmaIndex:85  */
/* localReadsVacancy: latencyLeft 5 */
v_mfma_f32_16x16x4_f32 a[140+0:143+0], v[vgprValuB_X0_I0+2+0+0], v[vgprValuA_X0_I0+10+0+0+1], a[140:143]
 // Ci += Ai*Br
/*  mfmaIndex:86  */
/* localReadsVacancy: latencyLeft 5 */
v_mfma_f32_16x16x4_f32 a[44+0:47+0], v[vgprValuB_X0_I0+2+0+0+1], v91, a[44:47]
 // Cr += -Ai*Bi
/*  mfmaIndex:87  */
/* localReadsVacancy: latencyLeft 5 */
v_mfma_f32_16x16x4_f32 a[140+0:143+0], v[vgprValuB_X0_I0+2+0+0+1], v[vgprValuA_X0_I0+10+0+0], a[140:143]
 // Ci += Ar*Bi
/*  mfmaIndex:88  */
/* localReadsVacancy: latencyLeft 5 */
	;; [unrolled: 16-line block ×3, first 2 shown]
v_mfma_f32_16x16x4_f32 a[92+0:95+0], v[vgprValuB_X0_I0+6+0+0], v[vgprValuA_X0_I0+10+0+0], a[92:95]
 // Cr += Ar*Br
/*  mfmaIndex:93  */
/* localReadsVacancy: latencyLeft 5 */
v_mfma_f32_16x16x4_f32 a[188+0:191+0], v[vgprValuB_X0_I0+6+0+0], v[vgprValuA_X0_I0+10+0+0+1], a[188:191]
 // Ci += Ai*Br
/*  mfmaIndex:94  */
/* localReadsVacancy: latencyLeft 5 */
v_mfma_f32_16x16x4_f32 a[92+0:95+0], v[vgprValuB_X0_I0+6+0+0+1], v91, a[92:95]
 // Cr += -Ai*Bi
/*  mfmaIndex:95  */
/* localReadsVacancy: latencyLeft 5 */
v_mfma_f32_16x16x4_f32 a[188+0:191+0], v[vgprValuB_X0_I0+6+0+0+1], v[vgprValuA_X0_I0+10+0+0], a[188:191]
 // Ci += Ar*Bi
/* numPrefetchIter=0 */
/* dataAtIterA=-1 numReadsIterA=1 skipReadsIterA=1 readsPerIterA=6 */
/* dataAtIterB=-1 numReadsIterB=1 skipReadsIterB=1 readsPerIterB=4 */


/* iter 1 */

/*  grEndMfmaIndex:4, lwStartMfmaIndex:202, lwEndMfmaIndex:374  */
/*  numMfmaForLR:7, barrierMfmaIndex:376, LocalWritePerMfma:0.105 */
/*  mfmaIndex:96  */
_ds_load_b64 v[vgprValuA_X0_I0+0:vgprValuA_X0_I0+0+1], v[vgprLocalReadAddrA] offset:6144 // L -> Reg lro=768 swapByteOffset=0 ti=32 vIdx=0 rIdx=0 oIdx=0 buffer=0 iui=0
_ds_load_b64 v[vgprValuB_X0_I0+0:vgprValuB_X0_I0+0+1], v[vgprLocalReadAddrB] offset:64 // L -> Reg lro=8 swapByteOffset=0 ti=64 vIdx=0 rIdx=0 oIdx=0 buffer=0 iui=0
s_waitcnt lgkmcnt(2)                               // lgkmcnt=0 vmcnt=-1wait for prior local read local write old=0, new=2 newLW=0 newLR=2
v_add_f32 v91, -v[vgprValuA_X1_I0+0+0+0+1], 0      // Ai=-Ai
v_mfma_f32_16x16x4_f32 a[0+0:3+0], v[vgprValuB_X1_I0+0+0+0], v[vgprValuA_X1_I0+0+0+0], a[0:3]
 // Cr += Ar*Br
/*  mfmaIndex:97  */
_ds_load_b64 v[vgprValuA_X0_I0+2:vgprValuA_X0_I0+2+1], v[vgprLocalReadAddrA] offset:6152 // L -> Reg lro=768 swapByteOffset=0 ti=32 vIdx=0 rIdx=0 oIdx=0 buffer=0 iui=0
_ds_load_b64 v[vgprValuA_X0_I0+4:vgprValuA_X0_I0+4+1], v[vgprLocalReadAddrA] offset:6400 // L -> Reg lro=768 swapByteOffset=0 ti=32 vIdx=1 rIdx=0 oIdx=0 buffer=0 iui=0
v_mfma_f32_16x16x4_f32 a[96+0:99+0], v[vgprValuB_X1_I0+0+0+0], v[vgprValuA_X1_I0+0+0+0+1], a[96:99]
 // Ci += Ai*Br
/*  mfmaIndex:98  */
_ds_load_b64 v[vgprValuA_X0_I0+6:vgprValuA_X0_I0+6+1], v[vgprLocalReadAddrA] offset:6408 // L -> Reg lro=768 swapByteOffset=0 ti=32 vIdx=1 rIdx=0 oIdx=0 buffer=0 iui=0
_ds_load_b64 v[vgprValuA_X0_I0+8:vgprValuA_X0_I0+8+1], v[vgprLocalReadAddrA] offset:6656 // L -> Reg lro=768 swapByteOffset=0 ti=32 vIdx=2 rIdx=0 oIdx=0 buffer=0 iui=0
v_mfma_f32_16x16x4_f32 a[0+0:3+0], v[vgprValuB_X1_I0+0+0+0+1], v91, a[0:3]
 // Cr += -Ai*Bi
/*  mfmaIndex:99  */
_ds_load_b64 v[vgprValuA_X0_I0+10:vgprValuA_X0_I0+10+1], v[vgprLocalReadAddrA] offset:6664 // L -> Reg lro=768 swapByteOffset=0 ti=32 vIdx=2 rIdx=0 oIdx=0 buffer=0 iui=0
_ds_load_b64 v[vgprValuB_X0_I0+2:vgprValuB_X0_I0+2+1], v[vgprLocalReadAddrB] offset:8768 // L -> Reg lro=8 swapByteOffset=0 ti=64 vIdx=1 rIdx=0 oIdx=0 buffer=0 iui=0
v_mfma_f32_16x16x4_f32 a[96+0:99+0], v[vgprValuB_X1_I0+0+0+0+1], v[vgprValuA_X1_I0+0+0+0], a[96:99]
 // Ci += Ar*Bi
/*  mfmaIndex:100  */
_ds_load_b64 v[vgprValuB_X0_I0+4:vgprValuB_X0_I0+4+1], v[vgprLocalReadAddrB] offset:17472 // L -> Reg lro=8 swapByteOffset=0 ti=64 vIdx=2 rIdx=0 oIdx=0 buffer=0 iui=0
_ds_load_b64 v[vgprValuB_X0_I0+6:vgprValuB_X0_I0+6+1], v[vgprLocalReadAddrB] offset:26176 // L -> Reg lro=8 swapByteOffset=0 ti=64 vIdx=3 rIdx=0 oIdx=0 buffer=0 iui=0
/* localReadsVacancy: latencyLeft 1 */
v_mfma_f32_16x16x4_f32 a[24+0:27+0], v[vgprValuB_X1_I0+2+0+0], v[vgprValuA_X1_I0+0+0+0], a[24:27]
 // Cr += Ar*Br
/*  mfmaIndex:101  */
/* localReadsVacancy: latencyLeft 5 */
v_mfma_f32_16x16x4_f32 a[120+0:123+0], v[vgprValuB_X1_I0+2+0+0], v[vgprValuA_X1_I0+0+0+0+1], a[120:123]
 // Ci += Ai*Br
/*  mfmaIndex:102  */
/* localReadsVacancy: latencyLeft 5 */
v_mfma_f32_16x16x4_f32 a[24+0:27+0], v[vgprValuB_X1_I0+2+0+0+1], v91, a[24:27]
 // Cr += -Ai*Bi
/*  mfmaIndex:103  */
/* localReadsVacancy: latencyLeft 5 */
v_mfma_f32_16x16x4_f32 a[120+0:123+0], v[vgprValuB_X1_I0+2+0+0+1], v[vgprValuA_X1_I0+0+0+0], a[120:123]
 // Ci += Ar*Bi
/*  mfmaIndex:104  */
/* localReadsVacancy: latencyLeft 5 */
v_mfma_f32_16x16x4_f32 a[48+0:51+0], v[vgprValuB_X1_I0+4+0+0], v[vgprValuA_X1_I0+0+0+0], a[48:51]
 // Cr += Ar*Br
/*  mfmaIndex:105  */
/* localReadsVacancy: latencyLeft 5 */
v_mfma_f32_16x16x4_f32 a[144+0:147+0], v[vgprValuB_X1_I0+4+0+0], v[vgprValuA_X1_I0+0+0+0+1], a[144:147]
 // Ci += Ai*Br
/*  mfmaIndex:106  */
/* localReadsVacancy: latencyLeft 5 */
v_mfma_f32_16x16x4_f32 a[48+0:51+0], v[vgprValuB_X1_I0+4+0+0+1], v91, a[48:51]
 // Cr += -Ai*Bi
/*  mfmaIndex:107  */
/* localReadsVacancy: latencyLeft 5 */
v_mfma_f32_16x16x4_f32 a[144+0:147+0], v[vgprValuB_X1_I0+4+0+0+1], v[vgprValuA_X1_I0+0+0+0], a[144:147]
 // Ci += Ar*Bi
/*  mfmaIndex:108  */
	;; [unrolled: 16-line block ×3, first 2 shown]
/* localReadsVacancy: latencyLeft 5 */
v_add_f32 v91, -v[vgprValuA_X1_I0+2+0+0+1], 0      // Ai=-Ai
v_mfma_f32_16x16x4_f32 a[4+0:7+0], v[vgprValuB_X1_I0+0+0+0], v[vgprValuA_X1_I0+2+0+0], a[4:7]
 // Cr += Ar*Br
/*  mfmaIndex:113  */
/* localReadsVacancy: latencyLeft 5 */
v_mfma_f32_16x16x4_f32 a[100+0:103+0], v[vgprValuB_X1_I0+0+0+0], v[vgprValuA_X1_I0+2+0+0+1], a[100:103]
 // Ci += Ai*Br
/*  mfmaIndex:114  */
/* localReadsVacancy: latencyLeft 5 */
v_mfma_f32_16x16x4_f32 a[4+0:7+0], v[vgprValuB_X1_I0+0+0+0+1], v91, a[4:7]
 // Cr += -Ai*Bi
/*  mfmaIndex:115  */
/* localReadsVacancy: latencyLeft 5 */
v_mfma_f32_16x16x4_f32 a[100+0:103+0], v[vgprValuB_X1_I0+0+0+0+1], v[vgprValuA_X1_I0+2+0+0], a[100:103]
 // Ci += Ar*Bi
/*  mfmaIndex:116  */
/* localReadsVacancy: latencyLeft 5 */
v_mfma_f32_16x16x4_f32 a[28+0:31+0], v[vgprValuB_X1_I0+2+0+0], v[vgprValuA_X1_I0+2+0+0], a[28:31]
 // Cr += Ar*Br
/*  mfmaIndex:117  */
/* localReadsVacancy: latencyLeft 5 */
v_mfma_f32_16x16x4_f32 a[124+0:127+0], v[vgprValuB_X1_I0+2+0+0], v[vgprValuA_X1_I0+2+0+0+1], a[124:127]
 // Ci += Ai*Br
/*  mfmaIndex:118  */
/* localReadsVacancy: latencyLeft 5 */
v_mfma_f32_16x16x4_f32 a[28+0:31+0], v[vgprValuB_X1_I0+2+0+0+1], v91, a[28:31]
 // Cr += -Ai*Bi
/*  mfmaIndex:119  */
/* localReadsVacancy: latencyLeft 5 */
v_mfma_f32_16x16x4_f32 a[124+0:127+0], v[vgprValuB_X1_I0+2+0+0+1], v[vgprValuA_X1_I0+2+0+0], a[124:127]
 // Ci += Ar*Bi
/*  mfmaIndex:120  */
/* localReadsVacancy: latencyLeft 5 */
	;; [unrolled: 16-line block ×4, first 2 shown]
v_add_f32 v91, -v[vgprValuA_X1_I0+4+0+0+1], 0      // Ai=-Ai
v_mfma_f32_16x16x4_f32 a[8+0:11+0], v[vgprValuB_X1_I0+0+0+0], v[vgprValuA_X1_I0+4+0+0], a[8:11]
 // Cr += Ar*Br
/*  mfmaIndex:129  */
/* localReadsVacancy: latencyLeft 5 */
v_mfma_f32_16x16x4_f32 a[104+0:107+0], v[vgprValuB_X1_I0+0+0+0], v[vgprValuA_X1_I0+4+0+0+1], a[104:107]
 // Ci += Ai*Br
/*  mfmaIndex:130  */
/* localReadsVacancy: latencyLeft 5 */
v_mfma_f32_16x16x4_f32 a[8+0:11+0], v[vgprValuB_X1_I0+0+0+0+1], v91, a[8:11]
 // Cr += -Ai*Bi
/*  mfmaIndex:131  */
/* localReadsVacancy: latencyLeft 5 */
v_mfma_f32_16x16x4_f32 a[104+0:107+0], v[vgprValuB_X1_I0+0+0+0+1], v[vgprValuA_X1_I0+4+0+0], a[104:107]
 // Ci += Ar*Bi
/*  mfmaIndex:132  */
/* localReadsVacancy: latencyLeft 5 */
v_mfma_f32_16x16x4_f32 a[32+0:35+0], v[vgprValuB_X1_I0+2+0+0], v[vgprValuA_X1_I0+4+0+0], a[32:35]
 // Cr += Ar*Br
/*  mfmaIndex:133  */
/* localReadsVacancy: latencyLeft 5 */
v_mfma_f32_16x16x4_f32 a[128+0:131+0], v[vgprValuB_X1_I0+2+0+0], v[vgprValuA_X1_I0+4+0+0+1], a[128:131]
 // Ci += Ai*Br
/*  mfmaIndex:134  */
/* localReadsVacancy: latencyLeft 5 */
v_mfma_f32_16x16x4_f32 a[32+0:35+0], v[vgprValuB_X1_I0+2+0+0+1], v91, a[32:35]
 // Cr += -Ai*Bi
/*  mfmaIndex:135  */
/* localReadsVacancy: latencyLeft 5 */
v_mfma_f32_16x16x4_f32 a[128+0:131+0], v[vgprValuB_X1_I0+2+0+0+1], v[vgprValuA_X1_I0+4+0+0], a[128:131]
 // Ci += Ar*Bi
/*  mfmaIndex:136  */
/* localReadsVacancy: latencyLeft 5 */
	;; [unrolled: 16-line block ×4, first 2 shown]
v_add_f32 v91, -v[vgprValuA_X1_I0+6+0+0+1], 0      // Ai=-Ai
v_mfma_f32_16x16x4_f32 a[12+0:15+0], v[vgprValuB_X1_I0+0+0+0], v[vgprValuA_X1_I0+6+0+0], a[12:15]
 // Cr += Ar*Br
/*  mfmaIndex:145  */
/* localReadsVacancy: latencyLeft 5 */
v_mfma_f32_16x16x4_f32 a[108+0:111+0], v[vgprValuB_X1_I0+0+0+0], v[vgprValuA_X1_I0+6+0+0+1], a[108:111]
 // Ci += Ai*Br
/*  mfmaIndex:146  */
/* localReadsVacancy: latencyLeft 5 */
v_mfma_f32_16x16x4_f32 a[12+0:15+0], v[vgprValuB_X1_I0+0+0+0+1], v91, a[12:15]
 // Cr += -Ai*Bi
/*  mfmaIndex:147  */
/* localReadsVacancy: latencyLeft 5 */
v_mfma_f32_16x16x4_f32 a[108+0:111+0], v[vgprValuB_X1_I0+0+0+0+1], v[vgprValuA_X1_I0+6+0+0], a[108:111]
 // Ci += Ar*Bi
/*  mfmaIndex:148  */
/* localReadsVacancy: latencyLeft 5 */
v_mfma_f32_16x16x4_f32 a[36+0:39+0], v[vgprValuB_X1_I0+2+0+0], v[vgprValuA_X1_I0+6+0+0], a[36:39]
 // Cr += Ar*Br
/*  mfmaIndex:149  */
/* localReadsVacancy: latencyLeft 5 */
v_mfma_f32_16x16x4_f32 a[132+0:135+0], v[vgprValuB_X1_I0+2+0+0], v[vgprValuA_X1_I0+6+0+0+1], a[132:135]
 // Ci += Ai*Br
/*  mfmaIndex:150  */
/* localReadsVacancy: latencyLeft 5 */
v_mfma_f32_16x16x4_f32 a[36+0:39+0], v[vgprValuB_X1_I0+2+0+0+1], v91, a[36:39]
 // Cr += -Ai*Bi
/*  mfmaIndex:151  */
/* localReadsVacancy: latencyLeft 5 */
v_mfma_f32_16x16x4_f32 a[132+0:135+0], v[vgprValuB_X1_I0+2+0+0+1], v[vgprValuA_X1_I0+6+0+0], a[132:135]
 // Ci += Ar*Bi
/*  mfmaIndex:152  */
/* localReadsVacancy: latencyLeft 5 */
	;; [unrolled: 16-line block ×4, first 2 shown]
v_add_f32 v91, -v[vgprValuA_X1_I0+8+0+0+1], 0      // Ai=-Ai
v_mfma_f32_16x16x4_f32 a[16+0:19+0], v[vgprValuB_X1_I0+0+0+0], v[vgprValuA_X1_I0+8+0+0], a[16:19]
 // Cr += Ar*Br
/*  mfmaIndex:161  */
/* localReadsVacancy: latencyLeft 5 */
v_mfma_f32_16x16x4_f32 a[112+0:115+0], v[vgprValuB_X1_I0+0+0+0], v[vgprValuA_X1_I0+8+0+0+1], a[112:115]
 // Ci += Ai*Br
/*  mfmaIndex:162  */
/* localReadsVacancy: latencyLeft 5 */
v_mfma_f32_16x16x4_f32 a[16+0:19+0], v[vgprValuB_X1_I0+0+0+0+1], v91, a[16:19]
 // Cr += -Ai*Bi
/*  mfmaIndex:163  */
/* localReadsVacancy: latencyLeft 5 */
v_mfma_f32_16x16x4_f32 a[112+0:115+0], v[vgprValuB_X1_I0+0+0+0+1], v[vgprValuA_X1_I0+8+0+0], a[112:115]
 // Ci += Ar*Bi
/*  mfmaIndex:164  */
/* localReadsVacancy: latencyLeft 5 */
v_mfma_f32_16x16x4_f32 a[40+0:43+0], v[vgprValuB_X1_I0+2+0+0], v[vgprValuA_X1_I0+8+0+0], a[40:43]
 // Cr += Ar*Br
/*  mfmaIndex:165  */
/* localReadsVacancy: latencyLeft 5 */
v_mfma_f32_16x16x4_f32 a[136+0:139+0], v[vgprValuB_X1_I0+2+0+0], v[vgprValuA_X1_I0+8+0+0+1], a[136:139]
 // Ci += Ai*Br
/*  mfmaIndex:166  */
/* localReadsVacancy: latencyLeft 5 */
v_mfma_f32_16x16x4_f32 a[40+0:43+0], v[vgprValuB_X1_I0+2+0+0+1], v91, a[40:43]
 // Cr += -Ai*Bi
/*  mfmaIndex:167  */
/* localReadsVacancy: latencyLeft 5 */
v_mfma_f32_16x16x4_f32 a[136+0:139+0], v[vgprValuB_X1_I0+2+0+0+1], v[vgprValuA_X1_I0+8+0+0], a[136:139]
 // Ci += Ar*Bi
/*  mfmaIndex:168  */
/* localReadsVacancy: latencyLeft 5 */
v_mfma_f32_16x16x4_f32 a[64+0:67+0], v[vgprValuB_X1_I0+4+0+0], v[vgprValuA_X1_I0+8+0+0], a[64:67]
 // Cr += Ar*Br
/*  mfmaIndex:169  */
/* localReadsVacancy: latencyLeft 5 */
v_mfma_f32_16x16x4_f32 a[160+0:163+0], v[vgprValuB_X1_I0+4+0+0], v[vgprValuA_X1_I0+8+0+0+1], a[160:163]
 // Ci += Ai*Br
/*  mfmaIndex:170  */
/* localReadsVacancy: latencyLeft 5 */
v_mfma_f32_16x16x4_f32 a[64+0:67+0], v[vgprValuB_X1_I0+4+0+0+1], v91, a[64:67]
 // Cr += -Ai*Bi
/*  mfmaIndex:171  */
/* localReadsVacancy: latencyLeft 5 */
v_mfma_f32_16x16x4_f32 a[160+0:163+0], v[vgprValuB_X1_I0+4+0+0+1], v[vgprValuA_X1_I0+8+0+0], a[160:163]
 // Ci += Ar*Bi
/*  mfmaIndex:172  */
/* localReadsVacancy: latencyLeft 5 */
v_mfma_f32_16x16x4_f32 a[88+0:91+0], v[vgprValuB_X1_I0+6+0+0], v[vgprValuA_X1_I0+8+0+0], a[88:91]
 // Cr += Ar*Br
/*  mfmaIndex:173  */
/* localReadsVacancy: latencyLeft 5 */
v_mfma_f32_16x16x4_f32 a[184+0:187+0], v[vgprValuB_X1_I0+6+0+0], v[vgprValuA_X1_I0+8+0+0+1], a[184:187]
 // Ci += Ai*Br
/*  mfmaIndex:174  */
/* localReadsVacancy: latencyLeft 5 */
v_mfma_f32_16x16x4_f32 a[88+0:91+0], v[vgprValuB_X1_I0+6+0+0+1], v91, a[88:91]
 // Cr += -Ai*Bi
/*  mfmaIndex:175  */
/* localReadsVacancy: latencyLeft 5 */
v_mfma_f32_16x16x4_f32 a[184+0:187+0], v[vgprValuB_X1_I0+6+0+0+1], v[vgprValuA_X1_I0+8+0+0], a[184:187]
 // Ci += Ar*Bi
/*  mfmaIndex:176  */
/* localReadsVacancy: latencyLeft 5 */
v_add_f32 v91, -v[vgprValuA_X1_I0+10+0+0+1], 0     // Ai=-Ai
v_mfma_f32_16x16x4_f32 a[20+0:23+0], v[vgprValuB_X1_I0+0+0+0], v[vgprValuA_X1_I0+10+0+0], a[20:23]
 // Cr += Ar*Br
/*  mfmaIndex:177  */
/* localReadsVacancy: latencyLeft 5 */
v_mfma_f32_16x16x4_f32 a[116+0:119+0], v[vgprValuB_X1_I0+0+0+0], v[vgprValuA_X1_I0+10+0+0+1], a[116:119]
 // Ci += Ai*Br
/*  mfmaIndex:178  */
/* localReadsVacancy: latencyLeft 5 */
v_mfma_f32_16x16x4_f32 a[20+0:23+0], v[vgprValuB_X1_I0+0+0+0+1], v91, a[20:23]
 // Cr += -Ai*Bi
/*  mfmaIndex:179  */
/* localReadsVacancy: latencyLeft 5 */
v_mfma_f32_16x16x4_f32 a[116+0:119+0], v[vgprValuB_X1_I0+0+0+0+1], v[vgprValuA_X1_I0+10+0+0], a[116:119]
 // Ci += Ar*Bi
/*  mfmaIndex:180  */
/* localReadsVacancy: latencyLeft 5 */
v_mfma_f32_16x16x4_f32 a[44+0:47+0], v[vgprValuB_X1_I0+2+0+0], v[vgprValuA_X1_I0+10+0+0], a[44:47]
 // Cr += Ar*Br
/*  mfmaIndex:181  */
/* localReadsVacancy: latencyLeft 5 */
v_mfma_f32_16x16x4_f32 a[140+0:143+0], v[vgprValuB_X1_I0+2+0+0], v[vgprValuA_X1_I0+10+0+0+1], a[140:143]
 // Ci += Ai*Br
/*  mfmaIndex:182  */
/* localReadsVacancy: latencyLeft 5 */
v_mfma_f32_16x16x4_f32 a[44+0:47+0], v[vgprValuB_X1_I0+2+0+0+1], v91, a[44:47]
 // Cr += -Ai*Bi
/*  mfmaIndex:183  */
/* localReadsVacancy: latencyLeft 5 */
v_mfma_f32_16x16x4_f32 a[140+0:143+0], v[vgprValuB_X1_I0+2+0+0+1], v[vgprValuA_X1_I0+10+0+0], a[140:143]
 // Ci += Ar*Bi
/*  mfmaIndex:184  */
/* localReadsVacancy: latencyLeft 5 */
	;; [unrolled: 16-line block ×3, first 2 shown]
v_mfma_f32_16x16x4_f32 a[92+0:95+0], v[vgprValuB_X1_I0+6+0+0], v[vgprValuA_X1_I0+10+0+0], a[92:95]
 // Cr += Ar*Br
/*  mfmaIndex:189  */
/* localReadsVacancy: latencyLeft 5 */
v_mfma_f32_16x16x4_f32 a[188+0:191+0], v[vgprValuB_X1_I0+6+0+0], v[vgprValuA_X1_I0+10+0+0+1], a[188:191]
 // Ci += Ai*Br
/*  mfmaIndex:190  */
/* localReadsVacancy: latencyLeft 5 */
v_mfma_f32_16x16x4_f32 a[92+0:95+0], v[vgprValuB_X1_I0+6+0+0+1], v91, a[92:95]
 // Cr += -Ai*Bi
/*  mfmaIndex:191  */
/* localReadsVacancy: latencyLeft 5 */
v_mfma_f32_16x16x4_f32 a[188+0:191+0], v[vgprValuB_X1_I0+6+0+0+1], v[vgprValuA_X1_I0+10+0+0], a[188:191]
 // Ci += Ar*Bi
/* numPrefetchIter=0 */
/* dataAtIterA=0 numReadsIterA=2 skipReadsIterA=1 readsPerIterA=6 */
/* dataAtIterB=0 numReadsIterB=2 skipReadsIterB=1 readsPerIterB=4 */


/* iter 2 (reset local read pointers iteration)  (swap local read pointers iteration)  */

/*  grEndMfmaIndex:4, lwStartMfmaIndex:202, lwEndMfmaIndex:374  */
/*  numMfmaForLR:7, barrierMfmaIndex:376, LocalWritePerMfma:0.105 */
/*  mfmaIndex:192  */
_ds_load_b64 v[vgprValuA_X1_I0+0:vgprValuA_X1_I0+0+1], v[vgprLocalReadAddrA] offset:9216 // L -> Reg lro=1152 swapByteOffset=0 ti=32 vIdx=0 rIdx=0 oIdx=0 buffer=1 iui=0
_ds_load_b64 v[vgprValuB_X1_I0+0:vgprValuB_X1_I0+0+1], v[vgprLocalReadAddrB] offset:96 // L -> Reg lro=12 swapByteOffset=0 ti=64 vIdx=0 rIdx=0 oIdx=0 buffer=1 iui=0
s_waitcnt lgkmcnt(2)                               // lgkmcnt=0 vmcnt=-1wait for prior local read local write old=0, new=2 newLW=0 newLR=2
v_add_f32 v91, -v[vgprValuA_X0_I0+0+0+0+1], 0      // Ai=-Ai
v_mfma_f32_16x16x4_f32 a[0+0:3+0], v[vgprValuB_X0_I0+0+0+0], v[vgprValuA_X0_I0+0+0+0], a[0:3]
 // Cr += Ar*Br
/*  mfmaIndex:193  */
_ds_load_b64 v[vgprValuA_X1_I0+2:vgprValuA_X1_I0+2+1], v[vgprLocalReadAddrA] offset:9224 // L -> Reg lro=1152 swapByteOffset=0 ti=32 vIdx=0 rIdx=0 oIdx=0 buffer=1 iui=0
_ds_load_b64 v[vgprValuA_X1_I0+4:vgprValuA_X1_I0+4+1], v[vgprLocalReadAddrA] offset:9472 // L -> Reg lro=1152 swapByteOffset=0 ti=32 vIdx=1 rIdx=0 oIdx=0 buffer=1 iui=0
v_mfma_f32_16x16x4_f32 a[96+0:99+0], v[vgprValuB_X0_I0+0+0+0], v[vgprValuA_X0_I0+0+0+0+1], a[96:99]
 // Ci += Ai*Br
/*  mfmaIndex:194  */
_ds_load_b64 v[vgprValuA_X1_I0+6:vgprValuA_X1_I0+6+1], v[vgprLocalReadAddrA] offset:9480 // L -> Reg lro=1152 swapByteOffset=0 ti=32 vIdx=1 rIdx=0 oIdx=0 buffer=1 iui=0
_ds_load_b64 v[vgprValuA_X1_I0+8:vgprValuA_X1_I0+8+1], v[vgprLocalReadAddrA] offset:9728 // L -> Reg lro=1152 swapByteOffset=0 ti=32 vIdx=2 rIdx=0 oIdx=0 buffer=1 iui=0
v_mfma_f32_16x16x4_f32 a[0+0:3+0], v[vgprValuB_X0_I0+0+0+0+1], v91, a[0:3]
 // Cr += -Ai*Bi
/*  mfmaIndex:195  */
_ds_load_b64 v[vgprValuA_X1_I0+10:vgprValuA_X1_I0+10+1], v[vgprLocalReadAddrA] offset:9736 // L -> Reg lro=1152 swapByteOffset=0 ti=32 vIdx=2 rIdx=0 oIdx=0 buffer=1 iui=0
_ds_load_b64 v[vgprValuB_X1_I0+2:vgprValuB_X1_I0+2+1], v[vgprLocalReadAddrB] offset:8800 // L -> Reg lro=12 swapByteOffset=0 ti=64 vIdx=1 rIdx=0 oIdx=0 buffer=1 iui=0
v_mfma_f32_16x16x4_f32 a[96+0:99+0], v[vgprValuB_X0_I0+0+0+0+1], v[vgprValuA_X0_I0+0+0+0], a[96:99]
 // Ci += Ar*Bi
/*  mfmaIndex:196  */
_ds_load_b64 v[vgprValuB_X1_I0+4:vgprValuB_X1_I0+4+1], v[vgprLocalReadAddrB] offset:17504 // L -> Reg lro=12 swapByteOffset=0 ti=64 vIdx=2 rIdx=0 oIdx=0 buffer=1 iui=0
_ds_load_b64 v[vgprValuB_X1_I0+6:vgprValuB_X1_I0+6+1], v[vgprLocalReadAddrB] offset:26208 // L -> Reg lro=12 swapByteOffset=0 ti=64 vIdx=3 rIdx=0 oIdx=0 buffer=1 iui=0
/* localReadsVacancy: latencyLeft 1 */
v_mfma_f32_16x16x4_f32 a[24+0:27+0], v[vgprValuB_X0_I0+2+0+0], v[vgprValuA_X0_I0+0+0+0], a[24:27]
 // Cr += Ar*Br
/*  mfmaIndex:197  */
/* localReadsVacancy: latencyLeft 5 */
v_mfma_f32_16x16x4_f32 a[120+0:123+0], v[vgprValuB_X0_I0+2+0+0], v[vgprValuA_X0_I0+0+0+0+1], a[120:123]
 // Ci += Ai*Br
/*  mfmaIndex:198  */
/* localReadsVacancy: latencyLeft 5 */
v_mfma_f32_16x16x4_f32 a[24+0:27+0], v[vgprValuB_X0_I0+2+0+0+1], v91, a[24:27]
 // Cr += -Ai*Bi
/*  mfmaIndex:199  */
/* localReadsVacancy: latencyLeft 5 */
v_mfma_f32_16x16x4_f32 a[120+0:123+0], v[vgprValuB_X0_I0+2+0+0+1], v[vgprValuA_X0_I0+0+0+0], a[120:123]
 // Ci += Ar*Bi
/*  mfmaIndex:200  */
/* localReadsVacancy: latencyLeft 5 */
v_mfma_f32_16x16x4_f32 a[48+0:51+0], v[vgprValuB_X0_I0+4+0+0], v[vgprValuA_X0_I0+0+0+0], a[48:51]
 // Cr += Ar*Br
/*  mfmaIndex:201  */
/* localReadsVacancy: latencyLeft 5 */
/* 1 LDS buffer: read-sync-write */
s_waitcnt lgkmcnt(0)                               // 
s_barrier                                          // 
v_mfma_f32_16x16x4_f32 a[144+0:147+0], v[vgprValuB_X0_I0+4+0+0], v[vgprValuA_X0_I0+0+0+0+1], a[144:147]
 // Ci += Ai*Br
/*  mfmaIndex:202  */
/* sched write - iter 2 writesPerItem=1 */
s_waitcnt vmcnt(0)                                 // lgkmcnt=-1 vmcnt=0wait for global read before writing to local
_ds_store_b128 v[vgprLocalWriteAddrA], v[vgprG2LA+0:vgprG2LA+0+3] offset:0 // lwoA_0_0_0_0 = (0*LSCA) + (0*LSPA)(*MT0I+PAD) = 0
v_mfma_f32_16x16x4_f32 a[48+0:51+0], v[vgprValuB_X0_I0+4+0+0+1], v91, a[48:51]
 // Cr += -Ai*Bi
/*  mfmaIndex:203  */
v_mfma_f32_16x16x4_f32 a[144+0:147+0], v[vgprValuB_X0_I0+4+0+0+1], v[vgprValuA_X0_I0+0+0+0], a[144:147]
 // Ci += Ar*Bi
/*  mfmaIndex:204  */
v_mfma_f32_16x16x4_f32 a[72+0:75+0], v[vgprValuB_X0_I0+6+0+0], v[vgprValuA_X0_I0+0+0+0], a[72:75]
 // Cr += Ar*Br
/*  mfmaIndex:205  */
v_mfma_f32_16x16x4_f32 a[168+0:171+0], v[vgprValuB_X0_I0+6+0+0], v[vgprValuA_X0_I0+0+0+0+1], a[168:171]
 // Ci += Ai*Br
/*  mfmaIndex:206  */
v_mfma_f32_16x16x4_f32 a[72+0:75+0], v[vgprValuB_X0_I0+6+0+0+1], v91, a[72:75]
 // Cr += -Ai*Bi
/*  mfmaIndex:207  */
v_mfma_f32_16x16x4_f32 a[168+0:171+0], v[vgprValuB_X0_I0+6+0+0+1], v[vgprValuA_X0_I0+0+0+0], a[168:171]
 // Ci += Ar*Bi
/*  mfmaIndex:208  */
v_add_f32 v91, -v[vgprValuA_X0_I0+2+0+0+1], 0      // Ai=-Ai
v_mfma_f32_16x16x4_f32 a[4+0:7+0], v[vgprValuB_X0_I0+0+0+0], v[vgprValuA_X0_I0+2+0+0], a[4:7]
 // Cr += Ar*Br
/*  mfmaIndex:209  */
v_mfma_f32_16x16x4_f32 a[100+0:103+0], v[vgprValuB_X0_I0+0+0+0], v[vgprValuA_X0_I0+2+0+0+1], a[100:103]
 // Ci += Ai*Br
/*  mfmaIndex:210  */
v_mfma_f32_16x16x4_f32 a[4+0:7+0], v[vgprValuB_X0_I0+0+0+0+1], v91, a[4:7]
 // Cr += -Ai*Bi
/*  mfmaIndex:211  */
/* sched write - iter 2 writesPerItem=1 */
s_waitcnt vmcnt(0)                                 // lgkmcnt=-1 vmcnt=0wait for global read before writing to local
_ds_store_b128 v[vgprLocalWriteAddrA], v[vgprG2LA+4:vgprG2LA+4+3] offset:256 // lwoA_1_0_0_0 = (1*LSCA) + (0*LSPA)(*MT0I+PAD) = 256
v_mfma_f32_16x16x4_f32 a[100+0:103+0], v[vgprValuB_X0_I0+0+0+0+1], v[vgprValuA_X0_I0+2+0+0], a[100:103]
 // Ci += Ar*Bi
/*  mfmaIndex:212  */
v_mfma_f32_16x16x4_f32 a[28+0:31+0], v[vgprValuB_X0_I0+2+0+0], v[vgprValuA_X0_I0+2+0+0], a[28:31]
 // Cr += Ar*Br
/*  mfmaIndex:213  */
v_mfma_f32_16x16x4_f32 a[124+0:127+0], v[vgprValuB_X0_I0+2+0+0], v[vgprValuA_X0_I0+2+0+0+1], a[124:127]
 // Ci += Ai*Br
/*  mfmaIndex:214  */
v_mfma_f32_16x16x4_f32 a[28+0:31+0], v[vgprValuB_X0_I0+2+0+0+1], v91, a[28:31]
 // Cr += -Ai*Bi
/*  mfmaIndex:215  */
v_mfma_f32_16x16x4_f32 a[124+0:127+0], v[vgprValuB_X0_I0+2+0+0+1], v[vgprValuA_X0_I0+2+0+0], a[124:127]
 // Ci += Ar*Bi
/*  mfmaIndex:216  */
v_mfma_f32_16x16x4_f32 a[52+0:55+0], v[vgprValuB_X0_I0+4+0+0], v[vgprValuA_X0_I0+2+0+0], a[52:55]
 // Cr += Ar*Br
/*  mfmaIndex:217  */
v_mfma_f32_16x16x4_f32 a[148+0:151+0], v[vgprValuB_X0_I0+4+0+0], v[vgprValuA_X0_I0+2+0+0+1], a[148:151]
 // Ci += Ai*Br
/*  mfmaIndex:218  */
v_mfma_f32_16x16x4_f32 a[52+0:55+0], v[vgprValuB_X0_I0+4+0+0+1], v91, a[52:55]
 // Cr += -Ai*Bi
/*  mfmaIndex:219  */
v_mfma_f32_16x16x4_f32 a[148+0:151+0], v[vgprValuB_X0_I0+4+0+0+1], v[vgprValuA_X0_I0+2+0+0], a[148:151]
 // Ci += Ar*Bi
/*  mfmaIndex:220  */
v_mfma_f32_16x16x4_f32 a[76+0:79+0], v[vgprValuB_X0_I0+6+0+0], v[vgprValuA_X0_I0+2+0+0], a[76:79]
 // Cr += Ar*Br
/*  mfmaIndex:221  */
/* sched write - iter 2 writesPerItem=1 */
s_waitcnt vmcnt(0)                                 // lgkmcnt=-1 vmcnt=0wait for global read before writing to local
_ds_store_b128 v[vgprLocalWriteAddrA], v[vgprG2LA+8:vgprG2LA+8+3] offset:512 // lwoA_2_0_0_0 = (2*LSCA) + (0*LSPA)(*MT0I+PAD) = 512
v_mfma_f32_16x16x4_f32 a[172+0:175+0], v[vgprValuB_X0_I0+6+0+0], v[vgprValuA_X0_I0+2+0+0+1], a[172:175]
 // Ci += Ai*Br
/*  mfmaIndex:222  */
v_mfma_f32_16x16x4_f32 a[76+0:79+0], v[vgprValuB_X0_I0+6+0+0+1], v91, a[76:79]
 // Cr += -Ai*Bi
/*  mfmaIndex:223  */
v_mfma_f32_16x16x4_f32 a[172+0:175+0], v[vgprValuB_X0_I0+6+0+0+1], v[vgprValuA_X0_I0+2+0+0], a[172:175]
 // Ci += Ar*Bi
/*  mfmaIndex:224  */
v_add_f32 v91, -v[vgprValuA_X0_I0+4+0+0+1], 0      // Ai=-Ai
v_mfma_f32_16x16x4_f32 a[8+0:11+0], v[vgprValuB_X0_I0+0+0+0], v[vgprValuA_X0_I0+4+0+0], a[8:11]
 // Cr += Ar*Br
/*  mfmaIndex:225  */
v_mfma_f32_16x16x4_f32 a[104+0:107+0], v[vgprValuB_X0_I0+0+0+0], v[vgprValuA_X0_I0+4+0+0+1], a[104:107]
 // Ci += Ai*Br
/*  mfmaIndex:226  */
v_mfma_f32_16x16x4_f32 a[8+0:11+0], v[vgprValuB_X0_I0+0+0+0+1], v91, a[8:11]
 // Cr += -Ai*Bi
/*  mfmaIndex:227  */
v_mfma_f32_16x16x4_f32 a[104+0:107+0], v[vgprValuB_X0_I0+0+0+0+1], v[vgprValuA_X0_I0+4+0+0], a[104:107]
 // Ci += Ar*Bi
/*  mfmaIndex:228  */
v_mfma_f32_16x16x4_f32 a[32+0:35+0], v[vgprValuB_X0_I0+2+0+0], v[vgprValuA_X0_I0+4+0+0], a[32:35]
 // Cr += Ar*Br
/*  mfmaIndex:229  */
v_mfma_f32_16x16x4_f32 a[128+0:131+0], v[vgprValuB_X0_I0+2+0+0], v[vgprValuA_X0_I0+4+0+0+1], a[128:131]
 // Ci += Ai*Br
/*  mfmaIndex:230  */
/* sched write - iter 2 writesPerItem=1 */
s_waitcnt vmcnt(0)                                 // lgkmcnt=-1 vmcnt=0wait for global read before writing to local
_ds_store_b64 v[vgprLocalWriteAddrB], v[vgprG2LB+0:vgprG2LB+0+1] offset:0 // lwoB_0_0_0_0 = (0*LSCB)*(MT1J+PAD) + (0*LSPB) = 0
v_mfma_f32_16x16x4_f32 a[32+0:35+0], v[vgprValuB_X0_I0+2+0+0+1], v91, a[32:35]
 // Cr += -Ai*Bi
/*  mfmaIndex:231  */
v_mfma_f32_16x16x4_f32 a[128+0:131+0], v[vgprValuB_X0_I0+2+0+0+1], v[vgprValuA_X0_I0+4+0+0], a[128:131]
 // Ci += Ar*Bi
/*  mfmaIndex:232  */
v_mfma_f32_16x16x4_f32 a[56+0:59+0], v[vgprValuB_X0_I0+4+0+0], v[vgprValuA_X0_I0+4+0+0], a[56:59]
 // Cr += Ar*Br
/*  mfmaIndex:233  */
v_mfma_f32_16x16x4_f32 a[152+0:155+0], v[vgprValuB_X0_I0+4+0+0], v[vgprValuA_X0_I0+4+0+0+1], a[152:155]
 // Ci += Ai*Br
/*  mfmaIndex:234  */
v_mfma_f32_16x16x4_f32 a[56+0:59+0], v[vgprValuB_X0_I0+4+0+0+1], v91, a[56:59]
 // Cr += -Ai*Bi
/*  mfmaIndex:235  */
v_mfma_f32_16x16x4_f32 a[152+0:155+0], v[vgprValuB_X0_I0+4+0+0+1], v[vgprValuA_X0_I0+4+0+0], a[152:155]
 // Ci += Ar*Bi
/*  mfmaIndex:236  */
v_mfma_f32_16x16x4_f32 a[80+0:83+0], v[vgprValuB_X0_I0+6+0+0], v[vgprValuA_X0_I0+4+0+0], a[80:83]
 // Cr += Ar*Br
/*  mfmaIndex:237  */
v_mfma_f32_16x16x4_f32 a[176+0:179+0], v[vgprValuB_X0_I0+6+0+0], v[vgprValuA_X0_I0+4+0+0+1], a[176:179]
 // Ci += Ai*Br
/*  mfmaIndex:238  */
v_mfma_f32_16x16x4_f32 a[80+0:83+0], v[vgprValuB_X0_I0+6+0+0+1], v91, a[80:83]
 // Cr += -Ai*Bi
/*  mfmaIndex:239  */
v_mfma_f32_16x16x4_f32 a[176+0:179+0], v[vgprValuB_X0_I0+6+0+0+1], v[vgprValuA_X0_I0+4+0+0], a[176:179]
 // Ci += Ar*Bi
/*  mfmaIndex:240  */
/* sched write - iter 2 writesPerItem=1 */
s_waitcnt vmcnt(0)                                 // lgkmcnt=-1 vmcnt=0wait for global read before writing to local
_ds_store_b64 v[vgprLocalWriteAddrB], v[vgprG2LB+2:vgprG2LB+2+1] offset:2176 // lwoB_0_0_1_0 = (0*LSCB)*(MT1J+PAD) + (1*LSPB) = 2176
v_add_f32 v91, -v[vgprValuA_X0_I0+6+0+0+1], 0      // Ai=-Ai
v_mfma_f32_16x16x4_f32 a[12+0:15+0], v[vgprValuB_X0_I0+0+0+0], v[vgprValuA_X0_I0+6+0+0], a[12:15]
 // Cr += Ar*Br
/*  mfmaIndex:241  */
v_mfma_f32_16x16x4_f32 a[108+0:111+0], v[vgprValuB_X0_I0+0+0+0], v[vgprValuA_X0_I0+6+0+0+1], a[108:111]
 // Ci += Ai*Br
/*  mfmaIndex:242  */
v_mfma_f32_16x16x4_f32 a[12+0:15+0], v[vgprValuB_X0_I0+0+0+0+1], v91, a[12:15]
 // Cr += -Ai*Bi
/*  mfmaIndex:243  */
v_mfma_f32_16x16x4_f32 a[108+0:111+0], v[vgprValuB_X0_I0+0+0+0+1], v[vgprValuA_X0_I0+6+0+0], a[108:111]
 // Ci += Ar*Bi
/*  mfmaIndex:244  */
v_mfma_f32_16x16x4_f32 a[36+0:39+0], v[vgprValuB_X0_I0+2+0+0], v[vgprValuA_X0_I0+6+0+0], a[36:39]
 // Cr += Ar*Br
/*  mfmaIndex:245  */
v_mfma_f32_16x16x4_f32 a[132+0:135+0], v[vgprValuB_X0_I0+2+0+0], v[vgprValuA_X0_I0+6+0+0+1], a[132:135]
 // Ci += Ai*Br
/*  mfmaIndex:246  */
v_mfma_f32_16x16x4_f32 a[36+0:39+0], v[vgprValuB_X0_I0+2+0+0+1], v91, a[36:39]
 // Cr += -Ai*Bi
/*  mfmaIndex:247  */
v_mfma_f32_16x16x4_f32 a[132+0:135+0], v[vgprValuB_X0_I0+2+0+0+1], v[vgprValuA_X0_I0+6+0+0], a[132:135]
 // Ci += Ar*Bi
/*  mfmaIndex:248  */
v_mfma_f32_16x16x4_f32 a[60+0:63+0], v[vgprValuB_X0_I0+4+0+0], v[vgprValuA_X0_I0+6+0+0], a[60:63]
 // Cr += Ar*Br
/*  mfmaIndex:249  */
/* sched write - iter 2 writesPerItem=1 */
s_waitcnt vmcnt(0)                                 // lgkmcnt=-1 vmcnt=0wait for global read before writing to local
_ds_store_b64 v[vgprLocalWriteAddrB], v[vgprG2LB+4:vgprG2LB+4+1] offset:4352 // lwoB_0_0_2_0 = (0*LSCB)*(MT1J+PAD) + (2*LSPB) = 4352
v_mfma_f32_16x16x4_f32 a[156+0:159+0], v[vgprValuB_X0_I0+4+0+0], v[vgprValuA_X0_I0+6+0+0+1], a[156:159]
 // Ci += Ai*Br
/*  mfmaIndex:250  */
v_mfma_f32_16x16x4_f32 a[60+0:63+0], v[vgprValuB_X0_I0+4+0+0+1], v91, a[60:63]
 // Cr += -Ai*Bi
/*  mfmaIndex:251  */
v_mfma_f32_16x16x4_f32 a[156+0:159+0], v[vgprValuB_X0_I0+4+0+0+1], v[vgprValuA_X0_I0+6+0+0], a[156:159]
 // Ci += Ar*Bi
/*  mfmaIndex:252  */
v_mfma_f32_16x16x4_f32 a[84+0:87+0], v[vgprValuB_X0_I0+6+0+0], v[vgprValuA_X0_I0+6+0+0], a[84:87]
 // Cr += Ar*Br
/*  mfmaIndex:253  */
v_mfma_f32_16x16x4_f32 a[180+0:183+0], v[vgprValuB_X0_I0+6+0+0], v[vgprValuA_X0_I0+6+0+0+1], a[180:183]
 // Ci += Ai*Br
/*  mfmaIndex:254  */
v_mfma_f32_16x16x4_f32 a[84+0:87+0], v[vgprValuB_X0_I0+6+0+0+1], v91, a[84:87]
 // Cr += -Ai*Bi
/*  mfmaIndex:255  */
v_mfma_f32_16x16x4_f32 a[180+0:183+0], v[vgprValuB_X0_I0+6+0+0+1], v[vgprValuA_X0_I0+6+0+0], a[180:183]
 // Ci += Ar*Bi
/*  mfmaIndex:256  */
v_add_f32 v91, -v[vgprValuA_X0_I0+8+0+0+1], 0      // Ai=-Ai
v_mfma_f32_16x16x4_f32 a[16+0:19+0], v[vgprValuB_X0_I0+0+0+0], v[vgprValuA_X0_I0+8+0+0], a[16:19]
 // Cr += Ar*Br
/*  mfmaIndex:257  */
v_mfma_f32_16x16x4_f32 a[112+0:115+0], v[vgprValuB_X0_I0+0+0+0], v[vgprValuA_X0_I0+8+0+0+1], a[112:115]
 // Ci += Ai*Br
/*  mfmaIndex:258  */
v_mfma_f32_16x16x4_f32 a[16+0:19+0], v[vgprValuB_X0_I0+0+0+0+1], v91, a[16:19]
 // Cr += -Ai*Bi
/*  mfmaIndex:259  */
/* sched write - iter 2 writesPerItem=1 */
s_waitcnt vmcnt(0)                                 // lgkmcnt=-1 vmcnt=0wait for global read before writing to local
_ds_store_b64 v[vgprLocalWriteAddrB], v[vgprG2LB+6:vgprG2LB+6+1] offset:6528 // lwoB_0_0_3_0 = (0*LSCB)*(MT1J+PAD) + (3*LSPB) = 6528
v_mfma_f32_16x16x4_f32 a[112+0:115+0], v[vgprValuB_X0_I0+0+0+0+1], v[vgprValuA_X0_I0+8+0+0], a[112:115]
 // Ci += Ar*Bi
/*  mfmaIndex:260  */
v_mfma_f32_16x16x4_f32 a[40+0:43+0], v[vgprValuB_X0_I0+2+0+0], v[vgprValuA_X0_I0+8+0+0], a[40:43]
 // Cr += Ar*Br
/*  mfmaIndex:261  */
v_mfma_f32_16x16x4_f32 a[136+0:139+0], v[vgprValuB_X0_I0+2+0+0], v[vgprValuA_X0_I0+8+0+0+1], a[136:139]
 // Ci += Ai*Br
/*  mfmaIndex:262  */
v_mfma_f32_16x16x4_f32 a[40+0:43+0], v[vgprValuB_X0_I0+2+0+0+1], v91, a[40:43]
 // Cr += -Ai*Bi
/*  mfmaIndex:263  */
v_mfma_f32_16x16x4_f32 a[136+0:139+0], v[vgprValuB_X0_I0+2+0+0+1], v[vgprValuA_X0_I0+8+0+0], a[136:139]
 // Ci += Ar*Bi
/*  mfmaIndex:264  */
v_mfma_f32_16x16x4_f32 a[64+0:67+0], v[vgprValuB_X0_I0+4+0+0], v[vgprValuA_X0_I0+8+0+0], a[64:67]
 // Cr += Ar*Br
/*  mfmaIndex:265  */
v_mfma_f32_16x16x4_f32 a[160+0:163+0], v[vgprValuB_X0_I0+4+0+0], v[vgprValuA_X0_I0+8+0+0+1], a[160:163]
 // Ci += Ai*Br
/*  mfmaIndex:266  */
v_mfma_f32_16x16x4_f32 a[64+0:67+0], v[vgprValuB_X0_I0+4+0+0+1], v91, a[64:67]
 // Cr += -Ai*Bi
/*  mfmaIndex:267  */
v_mfma_f32_16x16x4_f32 a[160+0:163+0], v[vgprValuB_X0_I0+4+0+0+1], v[vgprValuA_X0_I0+8+0+0], a[160:163]
 // Ci += Ar*Bi
/*  mfmaIndex:268  */
/* sched write - iter 2 writesPerItem=1 */
s_waitcnt vmcnt(0)                                 // lgkmcnt=-1 vmcnt=0wait for global read before writing to local
_ds_store_b64 v[vgprLocalWriteAddrB], v[vgprG2LB+8:vgprG2LB+8+1] offset:8704 // lwoB_0_0_4_0 = (0*LSCB)*(MT1J+PAD) + (4*LSPB) = 8704
v_mfma_f32_16x16x4_f32 a[88+0:91+0], v[vgprValuB_X0_I0+6+0+0], v[vgprValuA_X0_I0+8+0+0], a[88:91]
 // Cr += Ar*Br
/*  mfmaIndex:269  */
v_mfma_f32_16x16x4_f32 a[184+0:187+0], v[vgprValuB_X0_I0+6+0+0], v[vgprValuA_X0_I0+8+0+0+1], a[184:187]
 // Ci += Ai*Br
/*  mfmaIndex:270  */
v_mfma_f32_16x16x4_f32 a[88+0:91+0], v[vgprValuB_X0_I0+6+0+0+1], v91, a[88:91]
 // Cr += -Ai*Bi
/*  mfmaIndex:271  */
v_mfma_f32_16x16x4_f32 a[184+0:187+0], v[vgprValuB_X0_I0+6+0+0+1], v[vgprValuA_X0_I0+8+0+0], a[184:187]
 // Ci += Ar*Bi
/*  mfmaIndex:272  */
v_add_f32 v91, -v[vgprValuA_X0_I0+10+0+0+1], 0     // Ai=-Ai
v_mfma_f32_16x16x4_f32 a[20+0:23+0], v[vgprValuB_X0_I0+0+0+0], v[vgprValuA_X0_I0+10+0+0], a[20:23]
 // Cr += Ar*Br
/*  mfmaIndex:273  */
v_mfma_f32_16x16x4_f32 a[116+0:119+0], v[vgprValuB_X0_I0+0+0+0], v[vgprValuA_X0_I0+10+0+0+1], a[116:119]
 // Ci += Ai*Br
/*  mfmaIndex:274  */
v_mfma_f32_16x16x4_f32 a[20+0:23+0], v[vgprValuB_X0_I0+0+0+0+1], v91, a[20:23]
 // Cr += -Ai*Bi
/*  mfmaIndex:275  */
v_mfma_f32_16x16x4_f32 a[116+0:119+0], v[vgprValuB_X0_I0+0+0+0+1], v[vgprValuA_X0_I0+10+0+0], a[116:119]
 // Ci += Ar*Bi
/*  mfmaIndex:276  */
v_mfma_f32_16x16x4_f32 a[44+0:47+0], v[vgprValuB_X0_I0+2+0+0], v[vgprValuA_X0_I0+10+0+0], a[44:47]
 // Cr += Ar*Br
/*  mfmaIndex:277  */
v_mfma_f32_16x16x4_f32 a[140+0:143+0], v[vgprValuB_X0_I0+2+0+0], v[vgprValuA_X0_I0+10+0+0+1], a[140:143]
 // Ci += Ai*Br
/*  mfmaIndex:278  */
/* sched write - iter 2 writesPerItem=1 */
s_waitcnt vmcnt(0)                                 // lgkmcnt=-1 vmcnt=0wait for global read before writing to local
_ds_store_b64 v[vgprLocalWriteAddrB], v[vgprG2LB+10:vgprG2LB+10+1] offset:10880 // lwoB_0_0_5_0 = (0*LSCB)*(MT1J+PAD) + (5*LSPB) = 10880
v_mfma_f32_16x16x4_f32 a[44+0:47+0], v[vgprValuB_X0_I0+2+0+0+1], v91, a[44:47]
 // Cr += -Ai*Bi
/*  mfmaIndex:279  */
v_mfma_f32_16x16x4_f32 a[140+0:143+0], v[vgprValuB_X0_I0+2+0+0+1], v[vgprValuA_X0_I0+10+0+0], a[140:143]
 // Ci += Ar*Bi
/*  mfmaIndex:280  */
v_mfma_f32_16x16x4_f32 a[68+0:71+0], v[vgprValuB_X0_I0+4+0+0], v[vgprValuA_X0_I0+10+0+0], a[68:71]
 // Cr += Ar*Br
/*  mfmaIndex:281  */
v_mfma_f32_16x16x4_f32 a[164+0:167+0], v[vgprValuB_X0_I0+4+0+0], v[vgprValuA_X0_I0+10+0+0+1], a[164:167]
 // Ci += Ai*Br
/*  mfmaIndex:282  */
v_mfma_f32_16x16x4_f32 a[68+0:71+0], v[vgprValuB_X0_I0+4+0+0+1], v91, a[68:71]
 // Cr += -Ai*Bi
/*  mfmaIndex:283  */
v_mfma_f32_16x16x4_f32 a[164+0:167+0], v[vgprValuB_X0_I0+4+0+0+1], v[vgprValuA_X0_I0+10+0+0], a[164:167]
 // Ci += Ar*Bi
/*  mfmaIndex:284  */
v_mfma_f32_16x16x4_f32 a[92+0:95+0], v[vgprValuB_X0_I0+6+0+0], v[vgprValuA_X0_I0+10+0+0], a[92:95]
 // Cr += Ar*Br
/*  mfmaIndex:285  */
v_mfma_f32_16x16x4_f32 a[188+0:191+0], v[vgprValuB_X0_I0+6+0+0], v[vgprValuA_X0_I0+10+0+0+1], a[188:191]
 // Ci += Ai*Br
/*  mfmaIndex:286  */
v_mfma_f32_16x16x4_f32 a[92+0:95+0], v[vgprValuB_X0_I0+6+0+0+1], v91, a[92:95]
 // Cr += -Ai*Bi
/*  mfmaIndex:287  */
/* sched write - iter 2 writesPerItem=1 */
s_waitcnt vmcnt(0)                                 // lgkmcnt=-1 vmcnt=0wait for global read before writing to local
_ds_store_b64 v[vgprLocalWriteAddrB], v[vgprG2LB+12:vgprG2LB+12+1] offset:13056 // lwoB_0_0_6_0 = (0*LSCB)*(MT1J+PAD) + (6*LSPB) = 13056

/* local read swap offsets a */

/* local read swap offsets b */

/* local read init pointers a */

/* localReadInitPointers */

/* local read init pointers b */

/* localReadInitPointers */
v_mfma_f32_16x16x4_f32 a[188+0:191+0], v[vgprValuB_X0_I0+6+0+0+1], v[vgprValuA_X0_I0+10+0+0], a[188:191]
 // Ci += Ar*Bi
/* numPrefetchIter=0 */
/* dataAtIterA=1 numReadsIterA=3 skipReadsIterA=1 readsPerIterA=6 */
/* dataAtIterB=1 numReadsIterB=3 skipReadsIterB=1 readsPerIterB=4 */


/* iter 3 (swap and reset local write pointers iteration)  */

/*  grEndMfmaIndex:4, lwStartMfmaIndex:202, lwEndMfmaIndex:374  */
/*  numMfmaForLR:7, barrierMfmaIndex:376, LocalWritePerMfma:0.105 */
/*  mfmaIndex:288  */
s_waitcnt lgkmcnt(10)                              // lgkmcnt=0 vmcnt=-1wait for prior local read local write old=0, new=10 newLW=10 newLR=0
v_add_f32 v91, -v[vgprValuA_X1_I0+0+0+0+1], 0      // Ai=-Ai
v_mfma_f32_16x16x4_f32 a[0+0:3+0], v[vgprValuB_X1_I0+0+0+0], v[vgprValuA_X1_I0+0+0+0], a[0:3]
 // Cr += Ar*Br
/*  mfmaIndex:289  */
v_mfma_f32_16x16x4_f32 a[96+0:99+0], v[vgprValuB_X1_I0+0+0+0], v[vgprValuA_X1_I0+0+0+0+1], a[96:99]
 // Ci += Ai*Br
/*  mfmaIndex:290  */
v_mfma_f32_16x16x4_f32 a[0+0:3+0], v[vgprValuB_X1_I0+0+0+0+1], v91, a[0:3]
 // Cr += -Ai*Bi
/*  mfmaIndex:291  */
v_mfma_f32_16x16x4_f32 a[96+0:99+0], v[vgprValuB_X1_I0+0+0+0+1], v[vgprValuA_X1_I0+0+0+0], a[96:99]
 // Ci += Ar*Bi
/*  mfmaIndex:292  */
v_mfma_f32_16x16x4_f32 a[24+0:27+0], v[vgprValuB_X1_I0+2+0+0], v[vgprValuA_X1_I0+0+0+0], a[24:27]
 // Cr += Ar*Br
/*  mfmaIndex:293  */
v_mfma_f32_16x16x4_f32 a[120+0:123+0], v[vgprValuB_X1_I0+2+0+0], v[vgprValuA_X1_I0+0+0+0+1], a[120:123]
 // Ci += Ai*Br
/*  mfmaIndex:294  */
v_mfma_f32_16x16x4_f32 a[24+0:27+0], v[vgprValuB_X1_I0+2+0+0+1], v91, a[24:27]
 // Cr += -Ai*Bi
/*  mfmaIndex:295  */
v_mfma_f32_16x16x4_f32 a[120+0:123+0], v[vgprValuB_X1_I0+2+0+0+1], v[vgprValuA_X1_I0+0+0+0], a[120:123]
 // Ci += Ar*Bi
/*  mfmaIndex:296  */
v_mfma_f32_16x16x4_f32 a[48+0:51+0], v[vgprValuB_X1_I0+4+0+0], v[vgprValuA_X1_I0+0+0+0], a[48:51]
 // Cr += Ar*Br
/*  mfmaIndex:297  */
/* sched write - iter 3 writesPerItem=1 */
s_waitcnt vmcnt(0)                                 // lgkmcnt=-1 vmcnt=0wait for global read before writing to local
_ds_store_b64 v[vgprLocalWriteAddrB], v[vgprG2LB+14:vgprG2LB+14+1] offset:15232 // lwoB_0_0_7_0 = (0*LSCB)*(MT1J+PAD) + (7*LSPB) = 15232
v_mfma_f32_16x16x4_f32 a[144+0:147+0], v[vgprValuB_X1_I0+4+0+0], v[vgprValuA_X1_I0+0+0+0+1], a[144:147]
 // Ci += Ai*Br
/*  mfmaIndex:298  */
v_mfma_f32_16x16x4_f32 a[48+0:51+0], v[vgprValuB_X1_I0+4+0+0+1], v91, a[48:51]
 // Cr += -Ai*Bi
/*  mfmaIndex:299  */
v_mfma_f32_16x16x4_f32 a[144+0:147+0], v[vgprValuB_X1_I0+4+0+0+1], v[vgprValuA_X1_I0+0+0+0], a[144:147]
 // Ci += Ar*Bi
/*  mfmaIndex:300  */
v_mfma_f32_16x16x4_f32 a[72+0:75+0], v[vgprValuB_X1_I0+6+0+0], v[vgprValuA_X1_I0+0+0+0], a[72:75]
 // Cr += Ar*Br
/*  mfmaIndex:301  */
v_mfma_f32_16x16x4_f32 a[168+0:171+0], v[vgprValuB_X1_I0+6+0+0], v[vgprValuA_X1_I0+0+0+0+1], a[168:171]
 // Ci += Ai*Br
/*  mfmaIndex:302  */
v_mfma_f32_16x16x4_f32 a[72+0:75+0], v[vgprValuB_X1_I0+6+0+0+1], v91, a[72:75]
 // Cr += -Ai*Bi
/*  mfmaIndex:303  */
v_mfma_f32_16x16x4_f32 a[168+0:171+0], v[vgprValuB_X1_I0+6+0+0+1], v[vgprValuA_X1_I0+0+0+0], a[168:171]
 // Ci += Ar*Bi
/*  mfmaIndex:304  */
v_add_f32 v91, -v[vgprValuA_X1_I0+2+0+0+1], 0      // Ai=-Ai
v_mfma_f32_16x16x4_f32 a[4+0:7+0], v[vgprValuB_X1_I0+0+0+0], v[vgprValuA_X1_I0+2+0+0], a[4:7]
 // Cr += Ar*Br
/*  mfmaIndex:305  */
v_mfma_f32_16x16x4_f32 a[100+0:103+0], v[vgprValuB_X1_I0+0+0+0], v[vgprValuA_X1_I0+2+0+0+1], a[100:103]
 // Ci += Ai*Br
/*  mfmaIndex:306  */
/* sched write - iter 3 writesPerItem=1 */
s_waitcnt vmcnt(0)                                 // lgkmcnt=-1 vmcnt=0wait for global read before writing to local
_ds_store_b64 v[vgprLocalWriteAddrB], v[vgprG2LB+16:vgprG2LB+16+1] offset:17408 // lwoB_0_0_8_0 = (0*LSCB)*(MT1J+PAD) + (8*LSPB) = 17408
v_mfma_f32_16x16x4_f32 a[4+0:7+0], v[vgprValuB_X1_I0+0+0+0+1], v91, a[4:7]
 // Cr += -Ai*Bi
/*  mfmaIndex:307  */
v_mfma_f32_16x16x4_f32 a[100+0:103+0], v[vgprValuB_X1_I0+0+0+0+1], v[vgprValuA_X1_I0+2+0+0], a[100:103]
 // Ci += Ar*Bi
/*  mfmaIndex:308  */
v_mfma_f32_16x16x4_f32 a[28+0:31+0], v[vgprValuB_X1_I0+2+0+0], v[vgprValuA_X1_I0+2+0+0], a[28:31]
 // Cr += Ar*Br
/*  mfmaIndex:309  */
v_mfma_f32_16x16x4_f32 a[124+0:127+0], v[vgprValuB_X1_I0+2+0+0], v[vgprValuA_X1_I0+2+0+0+1], a[124:127]
 // Ci += Ai*Br
/*  mfmaIndex:310  */
v_mfma_f32_16x16x4_f32 a[28+0:31+0], v[vgprValuB_X1_I0+2+0+0+1], v91, a[28:31]
 // Cr += -Ai*Bi
/*  mfmaIndex:311  */
v_mfma_f32_16x16x4_f32 a[124+0:127+0], v[vgprValuB_X1_I0+2+0+0+1], v[vgprValuA_X1_I0+2+0+0], a[124:127]
 // Ci += Ar*Bi
/*  mfmaIndex:312  */
v_mfma_f32_16x16x4_f32 a[52+0:55+0], v[vgprValuB_X1_I0+4+0+0], v[vgprValuA_X1_I0+2+0+0], a[52:55]
 // Cr += Ar*Br
/*  mfmaIndex:313  */
v_mfma_f32_16x16x4_f32 a[148+0:151+0], v[vgprValuB_X1_I0+4+0+0], v[vgprValuA_X1_I0+2+0+0+1], a[148:151]
 // Ci += Ai*Br
/*  mfmaIndex:314  */
v_mfma_f32_16x16x4_f32 a[52+0:55+0], v[vgprValuB_X1_I0+4+0+0+1], v91, a[52:55]
 // Cr += -Ai*Bi
/*  mfmaIndex:315  */
v_mfma_f32_16x16x4_f32 a[148+0:151+0], v[vgprValuB_X1_I0+4+0+0+1], v[vgprValuA_X1_I0+2+0+0], a[148:151]
 // Ci += Ar*Bi
/*  mfmaIndex:316  */
/* sched write - iter 3 writesPerItem=1 */
s_waitcnt vmcnt(0)                                 // lgkmcnt=-1 vmcnt=0wait for global read before writing to local
_ds_store_b64 v[vgprLocalWriteAddrB], v[vgprG2LB+18:vgprG2LB+18+1] offset:19584 // lwoB_0_0_9_0 = (0*LSCB)*(MT1J+PAD) + (9*LSPB) = 19584
v_mfma_f32_16x16x4_f32 a[76+0:79+0], v[vgprValuB_X1_I0+6+0+0], v[vgprValuA_X1_I0+2+0+0], a[76:79]
 // Cr += Ar*Br
/*  mfmaIndex:317  */
v_mfma_f32_16x16x4_f32 a[172+0:175+0], v[vgprValuB_X1_I0+6+0+0], v[vgprValuA_X1_I0+2+0+0+1], a[172:175]
 // Ci += Ai*Br
/*  mfmaIndex:318  */
v_mfma_f32_16x16x4_f32 a[76+0:79+0], v[vgprValuB_X1_I0+6+0+0+1], v91, a[76:79]
 // Cr += -Ai*Bi
/*  mfmaIndex:319  */
v_mfma_f32_16x16x4_f32 a[172+0:175+0], v[vgprValuB_X1_I0+6+0+0+1], v[vgprValuA_X1_I0+2+0+0], a[172:175]
 // Ci += Ar*Bi
/*  mfmaIndex:320  */
v_add_f32 v91, -v[vgprValuA_X1_I0+4+0+0+1], 0      // Ai=-Ai
v_mfma_f32_16x16x4_f32 a[8+0:11+0], v[vgprValuB_X1_I0+0+0+0], v[vgprValuA_X1_I0+4+0+0], a[8:11]
 // Cr += Ar*Br
/*  mfmaIndex:321  */
v_mfma_f32_16x16x4_f32 a[104+0:107+0], v[vgprValuB_X1_I0+0+0+0], v[vgprValuA_X1_I0+4+0+0+1], a[104:107]
 // Ci += Ai*Br
/*  mfmaIndex:322  */
v_mfma_f32_16x16x4_f32 a[8+0:11+0], v[vgprValuB_X1_I0+0+0+0+1], v91, a[8:11]
 // Cr += -Ai*Bi
/*  mfmaIndex:323  */
v_mfma_f32_16x16x4_f32 a[104+0:107+0], v[vgprValuB_X1_I0+0+0+0+1], v[vgprValuA_X1_I0+4+0+0], a[104:107]
 // Ci += Ar*Bi
/*  mfmaIndex:324  */
v_mfma_f32_16x16x4_f32 a[32+0:35+0], v[vgprValuB_X1_I0+2+0+0], v[vgprValuA_X1_I0+4+0+0], a[32:35]
 // Cr += Ar*Br
/*  mfmaIndex:325  */
/* sched write - iter 3 writesPerItem=1 */
s_waitcnt vmcnt(0)                                 // lgkmcnt=-1 vmcnt=0wait for global read before writing to local
_ds_store_b64 v[vgprLocalWriteAddrB], v[vgprG2LB+20:vgprG2LB+20+1] offset:21760 // lwoB_0_0_10_0 = (0*LSCB)*(MT1J+PAD) + (10*LSPB) = 21760
v_mfma_f32_16x16x4_f32 a[128+0:131+0], v[vgprValuB_X1_I0+2+0+0], v[vgprValuA_X1_I0+4+0+0+1], a[128:131]
 // Ci += Ai*Br
/*  mfmaIndex:326  */
v_mfma_f32_16x16x4_f32 a[32+0:35+0], v[vgprValuB_X1_I0+2+0+0+1], v91, a[32:35]
 // Cr += -Ai*Bi
/*  mfmaIndex:327  */
v_mfma_f32_16x16x4_f32 a[128+0:131+0], v[vgprValuB_X1_I0+2+0+0+1], v[vgprValuA_X1_I0+4+0+0], a[128:131]
 // Ci += Ar*Bi
/*  mfmaIndex:328  */
v_mfma_f32_16x16x4_f32 a[56+0:59+0], v[vgprValuB_X1_I0+4+0+0], v[vgprValuA_X1_I0+4+0+0], a[56:59]
 // Cr += Ar*Br
/*  mfmaIndex:329  */
v_mfma_f32_16x16x4_f32 a[152+0:155+0], v[vgprValuB_X1_I0+4+0+0], v[vgprValuA_X1_I0+4+0+0+1], a[152:155]
 // Ci += Ai*Br
/*  mfmaIndex:330  */
v_mfma_f32_16x16x4_f32 a[56+0:59+0], v[vgprValuB_X1_I0+4+0+0+1], v91, a[56:59]
 // Cr += -Ai*Bi
/*  mfmaIndex:331  */
v_mfma_f32_16x16x4_f32 a[152+0:155+0], v[vgprValuB_X1_I0+4+0+0+1], v[vgprValuA_X1_I0+4+0+0], a[152:155]
 // Ci += Ar*Bi
/*  mfmaIndex:332  */
v_mfma_f32_16x16x4_f32 a[80+0:83+0], v[vgprValuB_X1_I0+6+0+0], v[vgprValuA_X1_I0+4+0+0], a[80:83]
 // Cr += Ar*Br
/*  mfmaIndex:333  */
v_mfma_f32_16x16x4_f32 a[176+0:179+0], v[vgprValuB_X1_I0+6+0+0], v[vgprValuA_X1_I0+4+0+0+1], a[176:179]
 // Ci += Ai*Br
/*  mfmaIndex:334  */
v_mfma_f32_16x16x4_f32 a[80+0:83+0], v[vgprValuB_X1_I0+6+0+0+1], v91, a[80:83]
 // Cr += -Ai*Bi
/*  mfmaIndex:335  */
/* sched write - iter 3 writesPerItem=1 */
s_waitcnt vmcnt(0)                                 // lgkmcnt=-1 vmcnt=0wait for global read before writing to local
_ds_store_b64 v[vgprLocalWriteAddrB], v[vgprG2LB+22:vgprG2LB+22+1] offset:23936 // lwoB_0_0_11_0 = (0*LSCB)*(MT1J+PAD) + (11*LSPB) = 23936
v_mfma_f32_16x16x4_f32 a[176+0:179+0], v[vgprValuB_X1_I0+6+0+0+1], v[vgprValuA_X1_I0+4+0+0], a[176:179]
 // Ci += Ar*Bi
/*  mfmaIndex:336  */
v_add_f32 v91, -v[vgprValuA_X1_I0+6+0+0+1], 0      // Ai=-Ai
v_mfma_f32_16x16x4_f32 a[12+0:15+0], v[vgprValuB_X1_I0+0+0+0], v[vgprValuA_X1_I0+6+0+0], a[12:15]
 // Cr += Ar*Br
/*  mfmaIndex:337  */
v_mfma_f32_16x16x4_f32 a[108+0:111+0], v[vgprValuB_X1_I0+0+0+0], v[vgprValuA_X1_I0+6+0+0+1], a[108:111]
 // Ci += Ai*Br
/*  mfmaIndex:338  */
v_mfma_f32_16x16x4_f32 a[12+0:15+0], v[vgprValuB_X1_I0+0+0+0+1], v91, a[12:15]
 // Cr += -Ai*Bi
/*  mfmaIndex:339  */
v_mfma_f32_16x16x4_f32 a[108+0:111+0], v[vgprValuB_X1_I0+0+0+0+1], v[vgprValuA_X1_I0+6+0+0], a[108:111]
 // Ci += Ar*Bi
/*  mfmaIndex:340  */
v_mfma_f32_16x16x4_f32 a[36+0:39+0], v[vgprValuB_X1_I0+2+0+0], v[vgprValuA_X1_I0+6+0+0], a[36:39]
 // Cr += Ar*Br
/*  mfmaIndex:341  */
v_mfma_f32_16x16x4_f32 a[132+0:135+0], v[vgprValuB_X1_I0+2+0+0], v[vgprValuA_X1_I0+6+0+0+1], a[132:135]
 // Ci += Ai*Br
/*  mfmaIndex:342  */
v_mfma_f32_16x16x4_f32 a[36+0:39+0], v[vgprValuB_X1_I0+2+0+0+1], v91, a[36:39]
 // Cr += -Ai*Bi
/*  mfmaIndex:343  */
v_mfma_f32_16x16x4_f32 a[132+0:135+0], v[vgprValuB_X1_I0+2+0+0+1], v[vgprValuA_X1_I0+6+0+0], a[132:135]
 // Ci += Ar*Bi
/*  mfmaIndex:344  */
/* sched write - iter 3 writesPerItem=1 */
s_waitcnt vmcnt(0)                                 // lgkmcnt=-1 vmcnt=0wait for global read before writing to local
_ds_store_b64 v[vgprLocalWriteAddrB], v[vgprG2LB+24:vgprG2LB+24+1] offset:26112 // lwoB_0_0_12_0 = (0*LSCB)*(MT1J+PAD) + (12*LSPB) = 26112
v_mfma_f32_16x16x4_f32 a[60+0:63+0], v[vgprValuB_X1_I0+4+0+0], v[vgprValuA_X1_I0+6+0+0], a[60:63]
 // Cr += Ar*Br
/*  mfmaIndex:345  */
v_mfma_f32_16x16x4_f32 a[156+0:159+0], v[vgprValuB_X1_I0+4+0+0], v[vgprValuA_X1_I0+6+0+0+1], a[156:159]
 // Ci += Ai*Br
/*  mfmaIndex:346  */
v_mfma_f32_16x16x4_f32 a[60+0:63+0], v[vgprValuB_X1_I0+4+0+0+1], v91, a[60:63]
 // Cr += -Ai*Bi
/*  mfmaIndex:347  */
v_mfma_f32_16x16x4_f32 a[156+0:159+0], v[vgprValuB_X1_I0+4+0+0+1], v[vgprValuA_X1_I0+6+0+0], a[156:159]
 // Ci += Ar*Bi
/*  mfmaIndex:348  */
v_mfma_f32_16x16x4_f32 a[84+0:87+0], v[vgprValuB_X1_I0+6+0+0], v[vgprValuA_X1_I0+6+0+0], a[84:87]
 // Cr += Ar*Br
/*  mfmaIndex:349  */
v_mfma_f32_16x16x4_f32 a[180+0:183+0], v[vgprValuB_X1_I0+6+0+0], v[vgprValuA_X1_I0+6+0+0+1], a[180:183]
 // Ci += Ai*Br
/*  mfmaIndex:350  */
v_mfma_f32_16x16x4_f32 a[84+0:87+0], v[vgprValuB_X1_I0+6+0+0+1], v91, a[84:87]
 // Cr += -Ai*Bi
/*  mfmaIndex:351  */
v_mfma_f32_16x16x4_f32 a[180+0:183+0], v[vgprValuB_X1_I0+6+0+0+1], v[vgprValuA_X1_I0+6+0+0], a[180:183]
 // Ci += Ar*Bi
/*  mfmaIndex:352  */
v_add_f32 v91, -v[vgprValuA_X1_I0+8+0+0+1], 0      // Ai=-Ai
v_mfma_f32_16x16x4_f32 a[16+0:19+0], v[vgprValuB_X1_I0+0+0+0], v[vgprValuA_X1_I0+8+0+0], a[16:19]
 // Cr += Ar*Br
/*  mfmaIndex:353  */
v_mfma_f32_16x16x4_f32 a[112+0:115+0], v[vgprValuB_X1_I0+0+0+0], v[vgprValuA_X1_I0+8+0+0+1], a[112:115]
 // Ci += Ai*Br
/*  mfmaIndex:354  */
/* sched write - iter 3 writesPerItem=1 */
s_waitcnt vmcnt(0)                                 // lgkmcnt=-1 vmcnt=0wait for global read before writing to local
_ds_store_b64 v[vgprLocalWriteAddrB], v[vgprG2LB+26:vgprG2LB+26+1] offset:28288 // lwoB_0_0_13_0 = (0*LSCB)*(MT1J+PAD) + (13*LSPB) = 28288
v_mfma_f32_16x16x4_f32 a[16+0:19+0], v[vgprValuB_X1_I0+0+0+0+1], v91, a[16:19]
 // Cr += -Ai*Bi
/*  mfmaIndex:355  */
v_mfma_f32_16x16x4_f32 a[112+0:115+0], v[vgprValuB_X1_I0+0+0+0+1], v[vgprValuA_X1_I0+8+0+0], a[112:115]
 // Ci += Ar*Bi
/*  mfmaIndex:356  */
v_mfma_f32_16x16x4_f32 a[40+0:43+0], v[vgprValuB_X1_I0+2+0+0], v[vgprValuA_X1_I0+8+0+0], a[40:43]
 // Cr += Ar*Br
/*  mfmaIndex:357  */
v_mfma_f32_16x16x4_f32 a[136+0:139+0], v[vgprValuB_X1_I0+2+0+0], v[vgprValuA_X1_I0+8+0+0+1], a[136:139]
 // Ci += Ai*Br
/*  mfmaIndex:358  */
v_mfma_f32_16x16x4_f32 a[40+0:43+0], v[vgprValuB_X1_I0+2+0+0+1], v91, a[40:43]
 // Cr += -Ai*Bi
/*  mfmaIndex:359  */
v_mfma_f32_16x16x4_f32 a[136+0:139+0], v[vgprValuB_X1_I0+2+0+0+1], v[vgprValuA_X1_I0+8+0+0], a[136:139]
 // Ci += Ar*Bi
/*  mfmaIndex:360  */
v_mfma_f32_16x16x4_f32 a[64+0:67+0], v[vgprValuB_X1_I0+4+0+0], v[vgprValuA_X1_I0+8+0+0], a[64:67]
 // Cr += Ar*Br
/*  mfmaIndex:361  */
v_mfma_f32_16x16x4_f32 a[160+0:163+0], v[vgprValuB_X1_I0+4+0+0], v[vgprValuA_X1_I0+8+0+0+1], a[160:163]
 // Ci += Ai*Br
/*  mfmaIndex:362  */
v_mfma_f32_16x16x4_f32 a[64+0:67+0], v[vgprValuB_X1_I0+4+0+0+1], v91, a[64:67]
 // Cr += -Ai*Bi
/*  mfmaIndex:363  */
/* sched write - iter 3 writesPerItem=1 */
s_waitcnt vmcnt(0)                                 // lgkmcnt=-1 vmcnt=0wait for global read before writing to local
_ds_store_b64 v[vgprLocalWriteAddrB], v[vgprG2LB+28:vgprG2LB+28+1] offset:30464 // lwoB_0_0_14_0 = (0*LSCB)*(MT1J+PAD) + (14*LSPB) = 30464
v_mfma_f32_16x16x4_f32 a[160+0:163+0], v[vgprValuB_X1_I0+4+0+0+1], v[vgprValuA_X1_I0+8+0+0], a[160:163]
 // Ci += Ar*Bi
/*  mfmaIndex:364  */
v_mfma_f32_16x16x4_f32 a[88+0:91+0], v[vgprValuB_X1_I0+6+0+0], v[vgprValuA_X1_I0+8+0+0], a[88:91]
 // Cr += Ar*Br
/*  mfmaIndex:365  */
v_mfma_f32_16x16x4_f32 a[184+0:187+0], v[vgprValuB_X1_I0+6+0+0], v[vgprValuA_X1_I0+8+0+0+1], a[184:187]
 // Ci += Ai*Br
/*  mfmaIndex:366  */
v_mfma_f32_16x16x4_f32 a[88+0:91+0], v[vgprValuB_X1_I0+6+0+0+1], v91, a[88:91]
 // Cr += -Ai*Bi
/*  mfmaIndex:367  */
v_mfma_f32_16x16x4_f32 a[184+0:187+0], v[vgprValuB_X1_I0+6+0+0+1], v[vgprValuA_X1_I0+8+0+0], a[184:187]
 // Ci += Ar*Bi
/*  mfmaIndex:368  */
v_add_f32 v91, -v[vgprValuA_X1_I0+10+0+0+1], 0     // Ai=-Ai
v_mfma_f32_16x16x4_f32 a[20+0:23+0], v[vgprValuB_X1_I0+0+0+0], v[vgprValuA_X1_I0+10+0+0], a[20:23]
 // Cr += Ar*Br
/*  mfmaIndex:369  */
v_mfma_f32_16x16x4_f32 a[116+0:119+0], v[vgprValuB_X1_I0+0+0+0], v[vgprValuA_X1_I0+10+0+0+1], a[116:119]
 // Ci += Ai*Br
/*  mfmaIndex:370  */
v_mfma_f32_16x16x4_f32 a[20+0:23+0], v[vgprValuB_X1_I0+0+0+0+1], v91, a[20:23]
 // Cr += -Ai*Bi
/*  mfmaIndex:371  */
v_mfma_f32_16x16x4_f32 a[116+0:119+0], v[vgprValuB_X1_I0+0+0+0+1], v[vgprValuA_X1_I0+10+0+0], a[116:119]
 // Ci += Ar*Bi
/*  mfmaIndex:372  */
v_mfma_f32_16x16x4_f32 a[44+0:47+0], v[vgprValuB_X1_I0+2+0+0], v[vgprValuA_X1_I0+10+0+0], a[44:47]
 // Cr += Ar*Br
/*  mfmaIndex:373  */
/* sched write - iter 3 writesPerItem=1 */
s_waitcnt vmcnt(0)                                 // lgkmcnt=-1 vmcnt=0wait for global read before writing to local
_ds_store_b64 v[vgprLocalWriteAddrB], v[vgprG2LB+30:vgprG2LB+30+1] offset:32640 // lwoB_0_0_15_0 = (0*LSCB)*(MT1J+PAD) + (15*LSPB) = 32640
v_mfma_f32_16x16x4_f32 a[140+0:143+0], v[vgprValuB_X1_I0+2+0+0], v[vgprValuA_X1_I0+10+0+0+1], a[140:143]
 // Ci += Ai*Br
/*  mfmaIndex:374  */

/* local write swap offsets a */

/* local write swap offsets b */
v_mfma_f32_16x16x4_f32 a[44+0:47+0], v[vgprValuB_X1_I0+2+0+0+1], v91, a[44:47]
 // Cr += -Ai*Bi
/*  mfmaIndex:375  */
v_mfma_f32_16x16x4_f32 a[140+0:143+0], v[vgprValuB_X1_I0+2+0+0+1], v[vgprValuA_X1_I0+10+0+0], a[140:143]
 // Ci += Ar*Bi
/*  mfmaIndex:376  */
s_waitcnt lgkmcnt(0)                               // lgkmcnt=0 vmcnt=-13wait for local write
// Skip force waitcnt0
s_barrier //
v_mfma_f32_16x16x4_f32 a[68+0:71+0], v[vgprValuB_X1_I0+4+0+0], v[vgprValuA_X1_I0+10+0+0], a[68:71]
 // Cr += Ar*Br
/*  mfmaIndex:377  */
_ds_load_b64 v[vgprValuA_X0_I0+0:vgprValuA_X0_I0+0+1], v[vgprLocalReadAddrA] offset:0 // L -> Reg lro=0 swapByteOffset=0 ti=32 vIdx=0 rIdx=0 oIdx=0 buffer=0 iui=0
_ds_load_b64 v[vgprValuB_X0_I0+0:vgprValuB_X0_I0+0+1], v[vgprLocalReadAddrB] offset:0 // L -> Reg lro=0 swapByteOffset=0 ti=64 vIdx=0 rIdx=0 oIdx=0 buffer=0 iui=0
v_mfma_f32_16x16x4_f32 a[164+0:167+0], v[vgprValuB_X1_I0+4+0+0], v[vgprValuA_X1_I0+10+0+0+1], a[164:167]
 // Ci += Ai*Br
/*  mfmaIndex:378  */
_ds_load_b64 v[vgprValuA_X0_I0+2:vgprValuA_X0_I0+2+1], v[vgprLocalReadAddrA] offset:8 // L -> Reg lro=0 swapByteOffset=0 ti=32 vIdx=0 rIdx=0 oIdx=0 buffer=0 iui=0
_ds_load_b64 v[vgprValuA_X0_I0+4:vgprValuA_X0_I0+4+1], v[vgprLocalReadAddrA] offset:256 // L -> Reg lro=0 swapByteOffset=0 ti=32 vIdx=1 rIdx=0 oIdx=0 buffer=0 iui=0
v_mfma_f32_16x16x4_f32 a[68+0:71+0], v[vgprValuB_X1_I0+4+0+0+1], v91, a[68:71]
 // Cr += -Ai*Bi
/*  mfmaIndex:379  */
_ds_load_b64 v[vgprValuA_X0_I0+6:vgprValuA_X0_I0+6+1], v[vgprLocalReadAddrA] offset:264 // L -> Reg lro=0 swapByteOffset=0 ti=32 vIdx=1 rIdx=0 oIdx=0 buffer=0 iui=0
_ds_load_b64 v[vgprValuA_X0_I0+8:vgprValuA_X0_I0+8+1], v[vgprLocalReadAddrA] offset:512 // L -> Reg lro=0 swapByteOffset=0 ti=32 vIdx=2 rIdx=0 oIdx=0 buffer=0 iui=0
v_mfma_f32_16x16x4_f32 a[164+0:167+0], v[vgprValuB_X1_I0+4+0+0+1], v[vgprValuA_X1_I0+10+0+0], a[164:167]
 // Ci += Ar*Bi
/*  mfmaIndex:380  */
_ds_load_b64 v[vgprValuA_X0_I0+10:vgprValuA_X0_I0+10+1], v[vgprLocalReadAddrA] offset:520 // L -> Reg lro=0 swapByteOffset=0 ti=32 vIdx=2 rIdx=0 oIdx=0 buffer=0 iui=0
_ds_load_b64 v[vgprValuB_X0_I0+2:vgprValuB_X0_I0+2+1], v[vgprLocalReadAddrB] offset:8704 // L -> Reg lro=0 swapByteOffset=0 ti=64 vIdx=1 rIdx=0 oIdx=0 buffer=0 iui=0
v_mfma_f32_16x16x4_f32 a[92+0:95+0], v[vgprValuB_X1_I0+6+0+0], v[vgprValuA_X1_I0+10+0+0], a[92:95]
 // Cr += Ar*Br
/*  mfmaIndex:381  */
_ds_load_b64 v[vgprValuB_X0_I0+4:vgprValuB_X0_I0+4+1], v[vgprLocalReadAddrB] offset:17408 // L -> Reg lro=0 swapByteOffset=0 ti=64 vIdx=2 rIdx=0 oIdx=0 buffer=0 iui=0
_ds_load_b64 v[vgprValuB_X0_I0+6:vgprValuB_X0_I0+6+1], v[vgprLocalReadAddrB] offset:26112 // L -> Reg lro=0 swapByteOffset=0 ti=64 vIdx=3 rIdx=0 oIdx=0 buffer=0 iui=0
v_mfma_f32_16x16x4_f32 a[188+0:191+0], v[vgprValuB_X1_I0+6+0+0], v[vgprValuA_X1_I0+10+0+0+1], a[188:191]
 // Ci += Ai*Br
/*  mfmaIndex:382  */
v_mfma_f32_16x16x4_f32 a[92+0:95+0], v[vgprValuB_X1_I0+6+0+0+1], v91, a[92:95]
 // Cr += -Ai*Bi
/*  mfmaIndex:383  */
v_mfma_f32_16x16x4_f32 a[188+0:191+0], v[vgprValuB_X1_I0+6+0+0+1], v[vgprValuA_X1_I0+10+0+0], a[188:191]
 // Ci += Ar*Bi
/* numPrefetchIter=1 */
/* dataAtIterA=2 numReadsIterA=3 skipReadsIterA=1 readsPerIterA=6 */
/* dataAtIterB=2 numReadsIterB=3 skipReadsIterB=1 readsPerIterB=4 */

label_0014:


/******************************************/
/* Ord. NoLoadLoop - Begin                                      */
/******************************************/


	;; [unrolled: 1-line block ×4, first 2 shown]
/* iter 0 (last unrolled loop) */

/*  grEndMfmaIndex:0, lwStartMfmaIndex:374, lwEndMfmaIndex:374  */
/*  numMfmaForLR:7, barrierMfmaIndex:376, LocalWritePerMfma:0.105 */
/*  mfmaIndex:0  */
s_waitcnt lgkmcnt(0)                               // lgkmcnt=0 vmcnt=-1wait for prior local read local write old=0, new=0 newLW=0 newLR=0
v_add_f32 v91, -v[vgprValuA_X0_I0+0+0+0+1], 0      // Ai=-Ai
v_mfma_f32_16x16x4_f32 a[0+0:3+0], v[vgprValuB_X0_I0+0+0+0], v[vgprValuA_X0_I0+0+0+0], a[0:3]
 // Cr += Ar*Br
/*  mfmaIndex:1  */
_ds_load_b64 v[vgprValuA_X1_I0+0:vgprValuA_X1_I0+0+1], v[vgprLocalReadAddrA] offset:3072 // L -> Reg lro=384 swapByteOffset=0 ti=32 vIdx=0 rIdx=0 oIdx=0 buffer=1 iui=0
_ds_load_b64 v[vgprValuB_X1_I0+0:vgprValuB_X1_I0+0+1], v[vgprLocalReadAddrB] offset:32 // L -> Reg lro=4 swapByteOffset=0 ti=64 vIdx=0 rIdx=0 oIdx=0 buffer=1 iui=0
v_mfma_f32_16x16x4_f32 a[96+0:99+0], v[vgprValuB_X0_I0+0+0+0], v[vgprValuA_X0_I0+0+0+0+1], a[96:99]
 // Ci += Ai*Br
/*  mfmaIndex:2  */
_ds_load_b64 v[vgprValuA_X1_I0+2:vgprValuA_X1_I0+2+1], v[vgprLocalReadAddrA] offset:3080 // L -> Reg lro=384 swapByteOffset=0 ti=32 vIdx=0 rIdx=0 oIdx=0 buffer=1 iui=0
_ds_load_b64 v[vgprValuA_X1_I0+4:vgprValuA_X1_I0+4+1], v[vgprLocalReadAddrA] offset:3328 // L -> Reg lro=384 swapByteOffset=0 ti=32 vIdx=1 rIdx=0 oIdx=0 buffer=1 iui=0
v_mfma_f32_16x16x4_f32 a[0+0:3+0], v[vgprValuB_X0_I0+0+0+0+1], v91, a[0:3]
 // Cr += -Ai*Bi
/*  mfmaIndex:3  */
_ds_load_b64 v[vgprValuA_X1_I0+6:vgprValuA_X1_I0+6+1], v[vgprLocalReadAddrA] offset:3336 // L -> Reg lro=384 swapByteOffset=0 ti=32 vIdx=1 rIdx=0 oIdx=0 buffer=1 iui=0
_ds_load_b64 v[vgprValuA_X1_I0+8:vgprValuA_X1_I0+8+1], v[vgprLocalReadAddrA] offset:3584 // L -> Reg lro=384 swapByteOffset=0 ti=32 vIdx=2 rIdx=0 oIdx=0 buffer=1 iui=0
v_mfma_f32_16x16x4_f32 a[96+0:99+0], v[vgprValuB_X0_I0+0+0+0+1], v[vgprValuA_X0_I0+0+0+0], a[96:99]
 // Ci += Ar*Bi
/*  mfmaIndex:4  */
_ds_load_b64 v[vgprValuA_X1_I0+10:vgprValuA_X1_I0+10+1], v[vgprLocalReadAddrA] offset:3592 // L -> Reg lro=384 swapByteOffset=0 ti=32 vIdx=2 rIdx=0 oIdx=0 buffer=1 iui=0
_ds_load_b64 v[vgprValuB_X1_I0+2:vgprValuB_X1_I0+2+1], v[vgprLocalReadAddrB] offset:8736 // L -> Reg lro=4 swapByteOffset=0 ti=64 vIdx=1 rIdx=0 oIdx=0 buffer=1 iui=0
v_mfma_f32_16x16x4_f32 a[24+0:27+0], v[vgprValuB_X0_I0+2+0+0], v[vgprValuA_X0_I0+0+0+0], a[24:27]
 // Cr += Ar*Br
/*  mfmaIndex:5  */
_ds_load_b64 v[vgprValuB_X1_I0+4:vgprValuB_X1_I0+4+1], v[vgprLocalReadAddrB] offset:17440 // L -> Reg lro=4 swapByteOffset=0 ti=64 vIdx=2 rIdx=0 oIdx=0 buffer=1 iui=0
_ds_load_b64 v[vgprValuB_X1_I0+6:vgprValuB_X1_I0+6+1], v[vgprLocalReadAddrB] offset:26144 // L -> Reg lro=4 swapByteOffset=0 ti=64 vIdx=3 rIdx=0 oIdx=0 buffer=1 iui=0
/* localReadsVacancy: latencyLeft 1 */
v_mfma_f32_16x16x4_f32 a[120+0:123+0], v[vgprValuB_X0_I0+2+0+0], v[vgprValuA_X0_I0+0+0+0+1], a[120:123]
 // Ci += Ai*Br
/*  mfmaIndex:6  */
/* localReadsVacancy: latencyLeft 5 */
v_mfma_f32_16x16x4_f32 a[24+0:27+0], v[vgprValuB_X0_I0+2+0+0+1], v91, a[24:27]
 // Cr += -Ai*Bi
/*  mfmaIndex:7  */
/* localReadsVacancy: latencyLeft 5 */
v_mfma_f32_16x16x4_f32 a[120+0:123+0], v[vgprValuB_X0_I0+2+0+0+1], v[vgprValuA_X0_I0+0+0+0], a[120:123]
 // Ci += Ar*Bi
/*  mfmaIndex:8  */
/* localReadsVacancy: latencyLeft 5 */
v_mfma_f32_16x16x4_f32 a[48+0:51+0], v[vgprValuB_X0_I0+4+0+0], v[vgprValuA_X0_I0+0+0+0], a[48:51]
 // Cr += Ar*Br
/*  mfmaIndex:9  */
/* localReadsVacancy: latencyLeft 5 */
v_mfma_f32_16x16x4_f32 a[144+0:147+0], v[vgprValuB_X0_I0+4+0+0], v[vgprValuA_X0_I0+0+0+0+1], a[144:147]
 // Ci += Ai*Br
/*  mfmaIndex:10  */
/* localReadsVacancy: latencyLeft 5 */
v_mfma_f32_16x16x4_f32 a[48+0:51+0], v[vgprValuB_X0_I0+4+0+0+1], v91, a[48:51]
 // Cr += -Ai*Bi
/*  mfmaIndex:11  */
/* localReadsVacancy: latencyLeft 5 */
v_mfma_f32_16x16x4_f32 a[144+0:147+0], v[vgprValuB_X0_I0+4+0+0+1], v[vgprValuA_X0_I0+0+0+0], a[144:147]
 // Ci += Ar*Bi
/*  mfmaIndex:12  */
/* localReadsVacancy: latencyLeft 5 */
v_mfma_f32_16x16x4_f32 a[72+0:75+0], v[vgprValuB_X0_I0+6+0+0], v[vgprValuA_X0_I0+0+0+0], a[72:75]
 // Cr += Ar*Br
/*  mfmaIndex:13  */
/* localReadsVacancy: latencyLeft 5 */
v_mfma_f32_16x16x4_f32 a[168+0:171+0], v[vgprValuB_X0_I0+6+0+0], v[vgprValuA_X0_I0+0+0+0+1], a[168:171]
 // Ci += Ai*Br
/*  mfmaIndex:14  */
/* localReadsVacancy: latencyLeft 5 */
v_mfma_f32_16x16x4_f32 a[72+0:75+0], v[vgprValuB_X0_I0+6+0+0+1], v91, a[72:75]
 // Cr += -Ai*Bi
/*  mfmaIndex:15  */
/* localReadsVacancy: latencyLeft 5 */
v_mfma_f32_16x16x4_f32 a[168+0:171+0], v[vgprValuB_X0_I0+6+0+0+1], v[vgprValuA_X0_I0+0+0+0], a[168:171]
 // Ci += Ar*Bi
/*  mfmaIndex:16  */
/* localReadsVacancy: latencyLeft 5 */
v_add_f32 v91, -v[vgprValuA_X0_I0+2+0+0+1], 0      // Ai=-Ai
v_mfma_f32_16x16x4_f32 a[4+0:7+0], v[vgprValuB_X0_I0+0+0+0], v[vgprValuA_X0_I0+2+0+0], a[4:7]
 // Cr += Ar*Br
/*  mfmaIndex:17  */
/* localReadsVacancy: latencyLeft 5 */
v_mfma_f32_16x16x4_f32 a[100+0:103+0], v[vgprValuB_X0_I0+0+0+0], v[vgprValuA_X0_I0+2+0+0+1], a[100:103]
 // Ci += Ai*Br
/*  mfmaIndex:18  */
/* localReadsVacancy: latencyLeft 5 */
v_mfma_f32_16x16x4_f32 a[4+0:7+0], v[vgprValuB_X0_I0+0+0+0+1], v91, a[4:7]
 // Cr += -Ai*Bi
/*  mfmaIndex:19  */
/* localReadsVacancy: latencyLeft 5 */
v_mfma_f32_16x16x4_f32 a[100+0:103+0], v[vgprValuB_X0_I0+0+0+0+1], v[vgprValuA_X0_I0+2+0+0], a[100:103]
 // Ci += Ar*Bi
/*  mfmaIndex:20  */
/* localReadsVacancy: latencyLeft 5 */
v_mfma_f32_16x16x4_f32 a[28+0:31+0], v[vgprValuB_X0_I0+2+0+0], v[vgprValuA_X0_I0+2+0+0], a[28:31]
 // Cr += Ar*Br
/*  mfmaIndex:21  */
/* localReadsVacancy: latencyLeft 5 */
v_mfma_f32_16x16x4_f32 a[124+0:127+0], v[vgprValuB_X0_I0+2+0+0], v[vgprValuA_X0_I0+2+0+0+1], a[124:127]
 // Ci += Ai*Br
/*  mfmaIndex:22  */
/* localReadsVacancy: latencyLeft 5 */
v_mfma_f32_16x16x4_f32 a[28+0:31+0], v[vgprValuB_X0_I0+2+0+0+1], v91, a[28:31]
 // Cr += -Ai*Bi
/*  mfmaIndex:23  */
/* localReadsVacancy: latencyLeft 5 */
v_mfma_f32_16x16x4_f32 a[124+0:127+0], v[vgprValuB_X0_I0+2+0+0+1], v[vgprValuA_X0_I0+2+0+0], a[124:127]
 // Ci += Ar*Bi
/*  mfmaIndex:24  */
/* localReadsVacancy: latencyLeft 5 */
	;; [unrolled: 16-line block ×4, first 2 shown]
v_add_f32 v91, -v[vgprValuA_X0_I0+4+0+0+1], 0      // Ai=-Ai
v_mfma_f32_16x16x4_f32 a[8+0:11+0], v[vgprValuB_X0_I0+0+0+0], v[vgprValuA_X0_I0+4+0+0], a[8:11]
 // Cr += Ar*Br
/*  mfmaIndex:33  */
/* localReadsVacancy: latencyLeft 5 */
v_mfma_f32_16x16x4_f32 a[104+0:107+0], v[vgprValuB_X0_I0+0+0+0], v[vgprValuA_X0_I0+4+0+0+1], a[104:107]
 // Ci += Ai*Br
/*  mfmaIndex:34  */
/* localReadsVacancy: latencyLeft 5 */
v_mfma_f32_16x16x4_f32 a[8+0:11+0], v[vgprValuB_X0_I0+0+0+0+1], v91, a[8:11]
 // Cr += -Ai*Bi
/*  mfmaIndex:35  */
/* localReadsVacancy: latencyLeft 5 */
v_mfma_f32_16x16x4_f32 a[104+0:107+0], v[vgprValuB_X0_I0+0+0+0+1], v[vgprValuA_X0_I0+4+0+0], a[104:107]
 // Ci += Ar*Bi
/*  mfmaIndex:36  */
/* localReadsVacancy: latencyLeft 5 */
v_mfma_f32_16x16x4_f32 a[32+0:35+0], v[vgprValuB_X0_I0+2+0+0], v[vgprValuA_X0_I0+4+0+0], a[32:35]
 // Cr += Ar*Br
/*  mfmaIndex:37  */
/* localReadsVacancy: latencyLeft 5 */
v_mfma_f32_16x16x4_f32 a[128+0:131+0], v[vgprValuB_X0_I0+2+0+0], v[vgprValuA_X0_I0+4+0+0+1], a[128:131]
 // Ci += Ai*Br
/*  mfmaIndex:38  */
/* localReadsVacancy: latencyLeft 5 */
v_mfma_f32_16x16x4_f32 a[32+0:35+0], v[vgprValuB_X0_I0+2+0+0+1], v91, a[32:35]
 // Cr += -Ai*Bi
/*  mfmaIndex:39  */
/* localReadsVacancy: latencyLeft 5 */
v_mfma_f32_16x16x4_f32 a[128+0:131+0], v[vgprValuB_X0_I0+2+0+0+1], v[vgprValuA_X0_I0+4+0+0], a[128:131]
 // Ci += Ar*Bi
/*  mfmaIndex:40  */
/* localReadsVacancy: latencyLeft 5 */
	;; [unrolled: 16-line block ×4, first 2 shown]
v_add_f32 v91, -v[vgprValuA_X0_I0+6+0+0+1], 0      // Ai=-Ai
v_mfma_f32_16x16x4_f32 a[12+0:15+0], v[vgprValuB_X0_I0+0+0+0], v[vgprValuA_X0_I0+6+0+0], a[12:15]
 // Cr += Ar*Br
/*  mfmaIndex:49  */
/* localReadsVacancy: latencyLeft 5 */
v_mfma_f32_16x16x4_f32 a[108+0:111+0], v[vgprValuB_X0_I0+0+0+0], v[vgprValuA_X0_I0+6+0+0+1], a[108:111]
 // Ci += Ai*Br
/*  mfmaIndex:50  */
/* localReadsVacancy: latencyLeft 5 */
v_mfma_f32_16x16x4_f32 a[12+0:15+0], v[vgprValuB_X0_I0+0+0+0+1], v91, a[12:15]
 // Cr += -Ai*Bi
/*  mfmaIndex:51  */
/* localReadsVacancy: latencyLeft 5 */
v_mfma_f32_16x16x4_f32 a[108+0:111+0], v[vgprValuB_X0_I0+0+0+0+1], v[vgprValuA_X0_I0+6+0+0], a[108:111]
 // Ci += Ar*Bi
/*  mfmaIndex:52  */
/* localReadsVacancy: latencyLeft 5 */
v_mfma_f32_16x16x4_f32 a[36+0:39+0], v[vgprValuB_X0_I0+2+0+0], v[vgprValuA_X0_I0+6+0+0], a[36:39]
 // Cr += Ar*Br
/*  mfmaIndex:53  */
/* localReadsVacancy: latencyLeft 5 */
v_mfma_f32_16x16x4_f32 a[132+0:135+0], v[vgprValuB_X0_I0+2+0+0], v[vgprValuA_X0_I0+6+0+0+1], a[132:135]
 // Ci += Ai*Br
/*  mfmaIndex:54  */
/* localReadsVacancy: latencyLeft 5 */
v_mfma_f32_16x16x4_f32 a[36+0:39+0], v[vgprValuB_X0_I0+2+0+0+1], v91, a[36:39]
 // Cr += -Ai*Bi
/*  mfmaIndex:55  */
/* localReadsVacancy: latencyLeft 5 */
v_mfma_f32_16x16x4_f32 a[132+0:135+0], v[vgprValuB_X0_I0+2+0+0+1], v[vgprValuA_X0_I0+6+0+0], a[132:135]
 // Ci += Ar*Bi
/*  mfmaIndex:56  */
/* localReadsVacancy: latencyLeft 5 */
	;; [unrolled: 16-line block ×4, first 2 shown]
v_add_f32 v91, -v[vgprValuA_X0_I0+8+0+0+1], 0      // Ai=-Ai
v_mfma_f32_16x16x4_f32 a[16+0:19+0], v[vgprValuB_X0_I0+0+0+0], v[vgprValuA_X0_I0+8+0+0], a[16:19]
 // Cr += Ar*Br
/*  mfmaIndex:65  */
/* localReadsVacancy: latencyLeft 5 */
v_mfma_f32_16x16x4_f32 a[112+0:115+0], v[vgprValuB_X0_I0+0+0+0], v[vgprValuA_X0_I0+8+0+0+1], a[112:115]
 // Ci += Ai*Br
/*  mfmaIndex:66  */
/* localReadsVacancy: latencyLeft 5 */
v_mfma_f32_16x16x4_f32 a[16+0:19+0], v[vgprValuB_X0_I0+0+0+0+1], v91, a[16:19]
 // Cr += -Ai*Bi
/*  mfmaIndex:67  */
/* localReadsVacancy: latencyLeft 5 */
v_mfma_f32_16x16x4_f32 a[112+0:115+0], v[vgprValuB_X0_I0+0+0+0+1], v[vgprValuA_X0_I0+8+0+0], a[112:115]
 // Ci += Ar*Bi
/*  mfmaIndex:68  */
/* localReadsVacancy: latencyLeft 5 */
v_mfma_f32_16x16x4_f32 a[40+0:43+0], v[vgprValuB_X0_I0+2+0+0], v[vgprValuA_X0_I0+8+0+0], a[40:43]
 // Cr += Ar*Br
/*  mfmaIndex:69  */
/* localReadsVacancy: latencyLeft 5 */
v_mfma_f32_16x16x4_f32 a[136+0:139+0], v[vgprValuB_X0_I0+2+0+0], v[vgprValuA_X0_I0+8+0+0+1], a[136:139]
 // Ci += Ai*Br
/*  mfmaIndex:70  */
/* localReadsVacancy: latencyLeft 5 */
v_mfma_f32_16x16x4_f32 a[40+0:43+0], v[vgprValuB_X0_I0+2+0+0+1], v91, a[40:43]
 // Cr += -Ai*Bi
/*  mfmaIndex:71  */
/* localReadsVacancy: latencyLeft 5 */
v_mfma_f32_16x16x4_f32 a[136+0:139+0], v[vgprValuB_X0_I0+2+0+0+1], v[vgprValuA_X0_I0+8+0+0], a[136:139]
 // Ci += Ar*Bi
/*  mfmaIndex:72  */
/* localReadsVacancy: latencyLeft 5 */
	;; [unrolled: 16-line block ×4, first 2 shown]
v_add_f32 v91, -v[vgprValuA_X0_I0+10+0+0+1], 0     // Ai=-Ai
v_mfma_f32_16x16x4_f32 a[20+0:23+0], v[vgprValuB_X0_I0+0+0+0], v[vgprValuA_X0_I0+10+0+0], a[20:23]
 // Cr += Ar*Br
/*  mfmaIndex:81  */
/* localReadsVacancy: latencyLeft 5 */
v_mfma_f32_16x16x4_f32 a[116+0:119+0], v[vgprValuB_X0_I0+0+0+0], v[vgprValuA_X0_I0+10+0+0+1], a[116:119]
 // Ci += Ai*Br
/*  mfmaIndex:82  */
/* localReadsVacancy: latencyLeft 5 */
v_mfma_f32_16x16x4_f32 a[20+0:23+0], v[vgprValuB_X0_I0+0+0+0+1], v91, a[20:23]
 // Cr += -Ai*Bi
/*  mfmaIndex:83  */
/* localReadsVacancy: latencyLeft 5 */
v_mfma_f32_16x16x4_f32 a[116+0:119+0], v[vgprValuB_X0_I0+0+0+0+1], v[vgprValuA_X0_I0+10+0+0], a[116:119]
 // Ci += Ar*Bi
/*  mfmaIndex:84  */
/* localReadsVacancy: latencyLeft 5 */
v_mfma_f32_16x16x4_f32 a[44+0:47+0], v[vgprValuB_X0_I0+2+0+0], v[vgprValuA_X0_I0+10+0+0], a[44:47]
 // Cr += Ar*Br
/*  mfmaIndex:85  */
/* localReadsVacancy: latencyLeft 5 */
v_mfma_f32_16x16x4_f32 a[140+0:143+0], v[vgprValuB_X0_I0+2+0+0], v[vgprValuA_X0_I0+10+0+0+1], a[140:143]
 // Ci += Ai*Br
/*  mfmaIndex:86  */
/* localReadsVacancy: latencyLeft 5 */
v_mfma_f32_16x16x4_f32 a[44+0:47+0], v[vgprValuB_X0_I0+2+0+0+1], v91, a[44:47]
 // Cr += -Ai*Bi
/*  mfmaIndex:87  */
/* localReadsVacancy: latencyLeft 5 */
v_mfma_f32_16x16x4_f32 a[140+0:143+0], v[vgprValuB_X0_I0+2+0+0+1], v[vgprValuA_X0_I0+10+0+0], a[140:143]
 // Ci += Ar*Bi
/*  mfmaIndex:88  */
/* localReadsVacancy: latencyLeft 5 */
	;; [unrolled: 16-line block ×3, first 2 shown]
v_mfma_f32_16x16x4_f32 a[92+0:95+0], v[vgprValuB_X0_I0+6+0+0], v[vgprValuA_X0_I0+10+0+0], a[92:95]
 // Cr += Ar*Br
/*  mfmaIndex:93  */
/* localReadsVacancy: latencyLeft 5 */
v_mfma_f32_16x16x4_f32 a[188+0:191+0], v[vgprValuB_X0_I0+6+0+0], v[vgprValuA_X0_I0+10+0+0+1], a[188:191]
 // Ci += Ai*Br
/*  mfmaIndex:94  */
/* localReadsVacancy: latencyLeft 5 */
v_mfma_f32_16x16x4_f32 a[92+0:95+0], v[vgprValuB_X0_I0+6+0+0+1], v91, a[92:95]
 // Cr += -Ai*Bi
/*  mfmaIndex:95  */
/* localReadsVacancy: latencyLeft 5 */
v_mfma_f32_16x16x4_f32 a[188+0:191+0], v[vgprValuB_X0_I0+6+0+0+1], v[vgprValuA_X0_I0+10+0+0], a[188:191]
 // Ci += Ar*Bi
/* numPrefetchIter=0 */
/* dataAtIterA=-1 numReadsIterA=1 skipReadsIterA=1 readsPerIterA=6 */
/* dataAtIterB=-1 numReadsIterB=1 skipReadsIterB=1 readsPerIterB=4 */


/* iter 1 (last unrolled loop) */

/*  grEndMfmaIndex:0, lwStartMfmaIndex:374, lwEndMfmaIndex:374  */
/*  numMfmaForLR:7, barrierMfmaIndex:376, LocalWritePerMfma:0.105 */
/*  mfmaIndex:96  */
_ds_load_b64 v[vgprValuA_X0_I0+0:vgprValuA_X0_I0+0+1], v[vgprLocalReadAddrA] offset:6144 // L -> Reg lro=768 swapByteOffset=0 ti=32 vIdx=0 rIdx=0 oIdx=0 buffer=0 iui=0
_ds_load_b64 v[vgprValuB_X0_I0+0:vgprValuB_X0_I0+0+1], v[vgprLocalReadAddrB] offset:64 // L -> Reg lro=8 swapByteOffset=0 ti=64 vIdx=0 rIdx=0 oIdx=0 buffer=0 iui=0
s_waitcnt lgkmcnt(2)                               // lgkmcnt=0 vmcnt=-1wait for prior local read local write old=0, new=2 newLW=0 newLR=2
v_add_f32 v91, -v[vgprValuA_X1_I0+0+0+0+1], 0      // Ai=-Ai
v_mfma_f32_16x16x4_f32 a[0+0:3+0], v[vgprValuB_X1_I0+0+0+0], v[vgprValuA_X1_I0+0+0+0], a[0:3]
 // Cr += Ar*Br
/*  mfmaIndex:97  */
_ds_load_b64 v[vgprValuA_X0_I0+2:vgprValuA_X0_I0+2+1], v[vgprLocalReadAddrA] offset:6152 // L -> Reg lro=768 swapByteOffset=0 ti=32 vIdx=0 rIdx=0 oIdx=0 buffer=0 iui=0
_ds_load_b64 v[vgprValuA_X0_I0+4:vgprValuA_X0_I0+4+1], v[vgprLocalReadAddrA] offset:6400 // L -> Reg lro=768 swapByteOffset=0 ti=32 vIdx=1 rIdx=0 oIdx=0 buffer=0 iui=0
v_mfma_f32_16x16x4_f32 a[96+0:99+0], v[vgprValuB_X1_I0+0+0+0], v[vgprValuA_X1_I0+0+0+0+1], a[96:99]
 // Ci += Ai*Br
/*  mfmaIndex:98  */
_ds_load_b64 v[vgprValuA_X0_I0+6:vgprValuA_X0_I0+6+1], v[vgprLocalReadAddrA] offset:6408 // L -> Reg lro=768 swapByteOffset=0 ti=32 vIdx=1 rIdx=0 oIdx=0 buffer=0 iui=0
_ds_load_b64 v[vgprValuA_X0_I0+8:vgprValuA_X0_I0+8+1], v[vgprLocalReadAddrA] offset:6656 // L -> Reg lro=768 swapByteOffset=0 ti=32 vIdx=2 rIdx=0 oIdx=0 buffer=0 iui=0
v_mfma_f32_16x16x4_f32 a[0+0:3+0], v[vgprValuB_X1_I0+0+0+0+1], v91, a[0:3]
 // Cr += -Ai*Bi
/*  mfmaIndex:99  */
_ds_load_b64 v[vgprValuA_X0_I0+10:vgprValuA_X0_I0+10+1], v[vgprLocalReadAddrA] offset:6664 // L -> Reg lro=768 swapByteOffset=0 ti=32 vIdx=2 rIdx=0 oIdx=0 buffer=0 iui=0
_ds_load_b64 v[vgprValuB_X0_I0+2:vgprValuB_X0_I0+2+1], v[vgprLocalReadAddrB] offset:8768 // L -> Reg lro=8 swapByteOffset=0 ti=64 vIdx=1 rIdx=0 oIdx=0 buffer=0 iui=0
v_mfma_f32_16x16x4_f32 a[96+0:99+0], v[vgprValuB_X1_I0+0+0+0+1], v[vgprValuA_X1_I0+0+0+0], a[96:99]
 // Ci += Ar*Bi
/*  mfmaIndex:100  */
_ds_load_b64 v[vgprValuB_X0_I0+4:vgprValuB_X0_I0+4+1], v[vgprLocalReadAddrB] offset:17472 // L -> Reg lro=8 swapByteOffset=0 ti=64 vIdx=2 rIdx=0 oIdx=0 buffer=0 iui=0
_ds_load_b64 v[vgprValuB_X0_I0+6:vgprValuB_X0_I0+6+1], v[vgprLocalReadAddrB] offset:26176 // L -> Reg lro=8 swapByteOffset=0 ti=64 vIdx=3 rIdx=0 oIdx=0 buffer=0 iui=0
/* localReadsVacancy: latencyLeft 1 */
v_mfma_f32_16x16x4_f32 a[24+0:27+0], v[vgprValuB_X1_I0+2+0+0], v[vgprValuA_X1_I0+0+0+0], a[24:27]
 // Cr += Ar*Br
/*  mfmaIndex:101  */
/* localReadsVacancy: latencyLeft 5 */
v_mfma_f32_16x16x4_f32 a[120+0:123+0], v[vgprValuB_X1_I0+2+0+0], v[vgprValuA_X1_I0+0+0+0+1], a[120:123]
 // Ci += Ai*Br
/*  mfmaIndex:102  */
/* localReadsVacancy: latencyLeft 5 */
v_mfma_f32_16x16x4_f32 a[24+0:27+0], v[vgprValuB_X1_I0+2+0+0+1], v91, a[24:27]
 // Cr += -Ai*Bi
/*  mfmaIndex:103  */
/* localReadsVacancy: latencyLeft 5 */
v_mfma_f32_16x16x4_f32 a[120+0:123+0], v[vgprValuB_X1_I0+2+0+0+1], v[vgprValuA_X1_I0+0+0+0], a[120:123]
 // Ci += Ar*Bi
/*  mfmaIndex:104  */
/* localReadsVacancy: latencyLeft 5 */
v_mfma_f32_16x16x4_f32 a[48+0:51+0], v[vgprValuB_X1_I0+4+0+0], v[vgprValuA_X1_I0+0+0+0], a[48:51]
 // Cr += Ar*Br
/*  mfmaIndex:105  */
/* localReadsVacancy: latencyLeft 5 */
v_mfma_f32_16x16x4_f32 a[144+0:147+0], v[vgprValuB_X1_I0+4+0+0], v[vgprValuA_X1_I0+0+0+0+1], a[144:147]
 // Ci += Ai*Br
/*  mfmaIndex:106  */
/* localReadsVacancy: latencyLeft 5 */
v_mfma_f32_16x16x4_f32 a[48+0:51+0], v[vgprValuB_X1_I0+4+0+0+1], v91, a[48:51]
 // Cr += -Ai*Bi
/*  mfmaIndex:107  */
/* localReadsVacancy: latencyLeft 5 */
v_mfma_f32_16x16x4_f32 a[144+0:147+0], v[vgprValuB_X1_I0+4+0+0+1], v[vgprValuA_X1_I0+0+0+0], a[144:147]
 // Ci += Ar*Bi
/*  mfmaIndex:108  */
	;; [unrolled: 16-line block ×3, first 2 shown]
/* localReadsVacancy: latencyLeft 5 */
v_add_f32 v91, -v[vgprValuA_X1_I0+2+0+0+1], 0      // Ai=-Ai
v_mfma_f32_16x16x4_f32 a[4+0:7+0], v[vgprValuB_X1_I0+0+0+0], v[vgprValuA_X1_I0+2+0+0], a[4:7]
 // Cr += Ar*Br
/*  mfmaIndex:113  */
/* localReadsVacancy: latencyLeft 5 */
v_mfma_f32_16x16x4_f32 a[100+0:103+0], v[vgprValuB_X1_I0+0+0+0], v[vgprValuA_X1_I0+2+0+0+1], a[100:103]
 // Ci += Ai*Br
/*  mfmaIndex:114  */
/* localReadsVacancy: latencyLeft 5 */
v_mfma_f32_16x16x4_f32 a[4+0:7+0], v[vgprValuB_X1_I0+0+0+0+1], v91, a[4:7]
 // Cr += -Ai*Bi
/*  mfmaIndex:115  */
/* localReadsVacancy: latencyLeft 5 */
v_mfma_f32_16x16x4_f32 a[100+0:103+0], v[vgprValuB_X1_I0+0+0+0+1], v[vgprValuA_X1_I0+2+0+0], a[100:103]
 // Ci += Ar*Bi
/*  mfmaIndex:116  */
/* localReadsVacancy: latencyLeft 5 */
v_mfma_f32_16x16x4_f32 a[28+0:31+0], v[vgprValuB_X1_I0+2+0+0], v[vgprValuA_X1_I0+2+0+0], a[28:31]
 // Cr += Ar*Br
/*  mfmaIndex:117  */
/* localReadsVacancy: latencyLeft 5 */
v_mfma_f32_16x16x4_f32 a[124+0:127+0], v[vgprValuB_X1_I0+2+0+0], v[vgprValuA_X1_I0+2+0+0+1], a[124:127]
 // Ci += Ai*Br
/*  mfmaIndex:118  */
/* localReadsVacancy: latencyLeft 5 */
v_mfma_f32_16x16x4_f32 a[28+0:31+0], v[vgprValuB_X1_I0+2+0+0+1], v91, a[28:31]
 // Cr += -Ai*Bi
/*  mfmaIndex:119  */
/* localReadsVacancy: latencyLeft 5 */
v_mfma_f32_16x16x4_f32 a[124+0:127+0], v[vgprValuB_X1_I0+2+0+0+1], v[vgprValuA_X1_I0+2+0+0], a[124:127]
 // Ci += Ar*Bi
/*  mfmaIndex:120  */
/* localReadsVacancy: latencyLeft 5 */
	;; [unrolled: 16-line block ×4, first 2 shown]
v_add_f32 v91, -v[vgprValuA_X1_I0+4+0+0+1], 0      // Ai=-Ai
v_mfma_f32_16x16x4_f32 a[8+0:11+0], v[vgprValuB_X1_I0+0+0+0], v[vgprValuA_X1_I0+4+0+0], a[8:11]
 // Cr += Ar*Br
/*  mfmaIndex:129  */
/* localReadsVacancy: latencyLeft 5 */
v_mfma_f32_16x16x4_f32 a[104+0:107+0], v[vgprValuB_X1_I0+0+0+0], v[vgprValuA_X1_I0+4+0+0+1], a[104:107]
 // Ci += Ai*Br
/*  mfmaIndex:130  */
/* localReadsVacancy: latencyLeft 5 */
v_mfma_f32_16x16x4_f32 a[8+0:11+0], v[vgprValuB_X1_I0+0+0+0+1], v91, a[8:11]
 // Cr += -Ai*Bi
/*  mfmaIndex:131  */
/* localReadsVacancy: latencyLeft 5 */
v_mfma_f32_16x16x4_f32 a[104+0:107+0], v[vgprValuB_X1_I0+0+0+0+1], v[vgprValuA_X1_I0+4+0+0], a[104:107]
 // Ci += Ar*Bi
/*  mfmaIndex:132  */
/* localReadsVacancy: latencyLeft 5 */
v_mfma_f32_16x16x4_f32 a[32+0:35+0], v[vgprValuB_X1_I0+2+0+0], v[vgprValuA_X1_I0+4+0+0], a[32:35]
 // Cr += Ar*Br
/*  mfmaIndex:133  */
/* localReadsVacancy: latencyLeft 5 */
v_mfma_f32_16x16x4_f32 a[128+0:131+0], v[vgprValuB_X1_I0+2+0+0], v[vgprValuA_X1_I0+4+0+0+1], a[128:131]
 // Ci += Ai*Br
/*  mfmaIndex:134  */
/* localReadsVacancy: latencyLeft 5 */
v_mfma_f32_16x16x4_f32 a[32+0:35+0], v[vgprValuB_X1_I0+2+0+0+1], v91, a[32:35]
 // Cr += -Ai*Bi
/*  mfmaIndex:135  */
/* localReadsVacancy: latencyLeft 5 */
v_mfma_f32_16x16x4_f32 a[128+0:131+0], v[vgprValuB_X1_I0+2+0+0+1], v[vgprValuA_X1_I0+4+0+0], a[128:131]
 // Ci += Ar*Bi
/*  mfmaIndex:136  */
/* localReadsVacancy: latencyLeft 5 */
	;; [unrolled: 16-line block ×4, first 2 shown]
v_add_f32 v91, -v[vgprValuA_X1_I0+6+0+0+1], 0      // Ai=-Ai
v_mfma_f32_16x16x4_f32 a[12+0:15+0], v[vgprValuB_X1_I0+0+0+0], v[vgprValuA_X1_I0+6+0+0], a[12:15]
 // Cr += Ar*Br
/*  mfmaIndex:145  */
/* localReadsVacancy: latencyLeft 5 */
v_mfma_f32_16x16x4_f32 a[108+0:111+0], v[vgprValuB_X1_I0+0+0+0], v[vgprValuA_X1_I0+6+0+0+1], a[108:111]
 // Ci += Ai*Br
/*  mfmaIndex:146  */
/* localReadsVacancy: latencyLeft 5 */
v_mfma_f32_16x16x4_f32 a[12+0:15+0], v[vgprValuB_X1_I0+0+0+0+1], v91, a[12:15]
 // Cr += -Ai*Bi
/*  mfmaIndex:147  */
/* localReadsVacancy: latencyLeft 5 */
v_mfma_f32_16x16x4_f32 a[108+0:111+0], v[vgprValuB_X1_I0+0+0+0+1], v[vgprValuA_X1_I0+6+0+0], a[108:111]
 // Ci += Ar*Bi
/*  mfmaIndex:148  */
/* localReadsVacancy: latencyLeft 5 */
v_mfma_f32_16x16x4_f32 a[36+0:39+0], v[vgprValuB_X1_I0+2+0+0], v[vgprValuA_X1_I0+6+0+0], a[36:39]
 // Cr += Ar*Br
/*  mfmaIndex:149  */
/* localReadsVacancy: latencyLeft 5 */
v_mfma_f32_16x16x4_f32 a[132+0:135+0], v[vgprValuB_X1_I0+2+0+0], v[vgprValuA_X1_I0+6+0+0+1], a[132:135]
 // Ci += Ai*Br
/*  mfmaIndex:150  */
/* localReadsVacancy: latencyLeft 5 */
v_mfma_f32_16x16x4_f32 a[36+0:39+0], v[vgprValuB_X1_I0+2+0+0+1], v91, a[36:39]
 // Cr += -Ai*Bi
/*  mfmaIndex:151  */
/* localReadsVacancy: latencyLeft 5 */
v_mfma_f32_16x16x4_f32 a[132+0:135+0], v[vgprValuB_X1_I0+2+0+0+1], v[vgprValuA_X1_I0+6+0+0], a[132:135]
 // Ci += Ar*Bi
/*  mfmaIndex:152  */
/* localReadsVacancy: latencyLeft 5 */
	;; [unrolled: 16-line block ×4, first 2 shown]
v_add_f32 v91, -v[vgprValuA_X1_I0+8+0+0+1], 0      // Ai=-Ai
v_mfma_f32_16x16x4_f32 a[16+0:19+0], v[vgprValuB_X1_I0+0+0+0], v[vgprValuA_X1_I0+8+0+0], a[16:19]
 // Cr += Ar*Br
/*  mfmaIndex:161  */
/* localReadsVacancy: latencyLeft 5 */
v_mfma_f32_16x16x4_f32 a[112+0:115+0], v[vgprValuB_X1_I0+0+0+0], v[vgprValuA_X1_I0+8+0+0+1], a[112:115]
 // Ci += Ai*Br
/*  mfmaIndex:162  */
/* localReadsVacancy: latencyLeft 5 */
v_mfma_f32_16x16x4_f32 a[16+0:19+0], v[vgprValuB_X1_I0+0+0+0+1], v91, a[16:19]
 // Cr += -Ai*Bi
/*  mfmaIndex:163  */
/* localReadsVacancy: latencyLeft 5 */
v_mfma_f32_16x16x4_f32 a[112+0:115+0], v[vgprValuB_X1_I0+0+0+0+1], v[vgprValuA_X1_I0+8+0+0], a[112:115]
 // Ci += Ar*Bi
/*  mfmaIndex:164  */
/* localReadsVacancy: latencyLeft 5 */
v_mfma_f32_16x16x4_f32 a[40+0:43+0], v[vgprValuB_X1_I0+2+0+0], v[vgprValuA_X1_I0+8+0+0], a[40:43]
 // Cr += Ar*Br
/*  mfmaIndex:165  */
/* localReadsVacancy: latencyLeft 5 */
v_mfma_f32_16x16x4_f32 a[136+0:139+0], v[vgprValuB_X1_I0+2+0+0], v[vgprValuA_X1_I0+8+0+0+1], a[136:139]
 // Ci += Ai*Br
/*  mfmaIndex:166  */
/* localReadsVacancy: latencyLeft 5 */
v_mfma_f32_16x16x4_f32 a[40+0:43+0], v[vgprValuB_X1_I0+2+0+0+1], v91, a[40:43]
 // Cr += -Ai*Bi
/*  mfmaIndex:167  */
/* localReadsVacancy: latencyLeft 5 */
v_mfma_f32_16x16x4_f32 a[136+0:139+0], v[vgprValuB_X1_I0+2+0+0+1], v[vgprValuA_X1_I0+8+0+0], a[136:139]
 // Ci += Ar*Bi
/*  mfmaIndex:168  */
/* localReadsVacancy: latencyLeft 5 */
v_mfma_f32_16x16x4_f32 a[64+0:67+0], v[vgprValuB_X1_I0+4+0+0], v[vgprValuA_X1_I0+8+0+0], a[64:67]
 // Cr += Ar*Br
/*  mfmaIndex:169  */
/* localReadsVacancy: latencyLeft 5 */
v_mfma_f32_16x16x4_f32 a[160+0:163+0], v[vgprValuB_X1_I0+4+0+0], v[vgprValuA_X1_I0+8+0+0+1], a[160:163]
 // Ci += Ai*Br
/*  mfmaIndex:170  */
/* localReadsVacancy: latencyLeft 5 */
v_mfma_f32_16x16x4_f32 a[64+0:67+0], v[vgprValuB_X1_I0+4+0+0+1], v91, a[64:67]
 // Cr += -Ai*Bi
/*  mfmaIndex:171  */
/* localReadsVacancy: latencyLeft 5 */
v_mfma_f32_16x16x4_f32 a[160+0:163+0], v[vgprValuB_X1_I0+4+0+0+1], v[vgprValuA_X1_I0+8+0+0], a[160:163]
 // Ci += Ar*Bi
/*  mfmaIndex:172  */
/* localReadsVacancy: latencyLeft 5 */
v_mfma_f32_16x16x4_f32 a[88+0:91+0], v[vgprValuB_X1_I0+6+0+0], v[vgprValuA_X1_I0+8+0+0], a[88:91]
 // Cr += Ar*Br
/*  mfmaIndex:173  */
/* localReadsVacancy: latencyLeft 5 */
v_mfma_f32_16x16x4_f32 a[184+0:187+0], v[vgprValuB_X1_I0+6+0+0], v[vgprValuA_X1_I0+8+0+0+1], a[184:187]
 // Ci += Ai*Br
/*  mfmaIndex:174  */
/* localReadsVacancy: latencyLeft 5 */
v_mfma_f32_16x16x4_f32 a[88+0:91+0], v[vgprValuB_X1_I0+6+0+0+1], v91, a[88:91]
 // Cr += -Ai*Bi
/*  mfmaIndex:175  */
/* localReadsVacancy: latencyLeft 5 */
v_mfma_f32_16x16x4_f32 a[184+0:187+0], v[vgprValuB_X1_I0+6+0+0+1], v[vgprValuA_X1_I0+8+0+0], a[184:187]
 // Ci += Ar*Bi
/*  mfmaIndex:176  */
/* localReadsVacancy: latencyLeft 5 */
v_add_f32 v91, -v[vgprValuA_X1_I0+10+0+0+1], 0     // Ai=-Ai
v_mfma_f32_16x16x4_f32 a[20+0:23+0], v[vgprValuB_X1_I0+0+0+0], v[vgprValuA_X1_I0+10+0+0], a[20:23]
 // Cr += Ar*Br
/*  mfmaIndex:177  */
/* localReadsVacancy: latencyLeft 5 */
v_mfma_f32_16x16x4_f32 a[116+0:119+0], v[vgprValuB_X1_I0+0+0+0], v[vgprValuA_X1_I0+10+0+0+1], a[116:119]
 // Ci += Ai*Br
/*  mfmaIndex:178  */
/* localReadsVacancy: latencyLeft 5 */
v_mfma_f32_16x16x4_f32 a[20+0:23+0], v[vgprValuB_X1_I0+0+0+0+1], v91, a[20:23]
 // Cr += -Ai*Bi
/*  mfmaIndex:179  */
/* localReadsVacancy: latencyLeft 5 */
v_mfma_f32_16x16x4_f32 a[116+0:119+0], v[vgprValuB_X1_I0+0+0+0+1], v[vgprValuA_X1_I0+10+0+0], a[116:119]
 // Ci += Ar*Bi
/*  mfmaIndex:180  */
/* localReadsVacancy: latencyLeft 5 */
v_mfma_f32_16x16x4_f32 a[44+0:47+0], v[vgprValuB_X1_I0+2+0+0], v[vgprValuA_X1_I0+10+0+0], a[44:47]
 // Cr += Ar*Br
/*  mfmaIndex:181  */
/* localReadsVacancy: latencyLeft 5 */
v_mfma_f32_16x16x4_f32 a[140+0:143+0], v[vgprValuB_X1_I0+2+0+0], v[vgprValuA_X1_I0+10+0+0+1], a[140:143]
 // Ci += Ai*Br
/*  mfmaIndex:182  */
/* localReadsVacancy: latencyLeft 5 */
v_mfma_f32_16x16x4_f32 a[44+0:47+0], v[vgprValuB_X1_I0+2+0+0+1], v91, a[44:47]
 // Cr += -Ai*Bi
/*  mfmaIndex:183  */
/* localReadsVacancy: latencyLeft 5 */
v_mfma_f32_16x16x4_f32 a[140+0:143+0], v[vgprValuB_X1_I0+2+0+0+1], v[vgprValuA_X1_I0+10+0+0], a[140:143]
 // Ci += Ar*Bi
/*  mfmaIndex:184  */
/* localReadsVacancy: latencyLeft 5 */
	;; [unrolled: 16-line block ×3, first 2 shown]
v_mfma_f32_16x16x4_f32 a[92+0:95+0], v[vgprValuB_X1_I0+6+0+0], v[vgprValuA_X1_I0+10+0+0], a[92:95]
 // Cr += Ar*Br
/*  mfmaIndex:189  */
/* localReadsVacancy: latencyLeft 5 */
v_mfma_f32_16x16x4_f32 a[188+0:191+0], v[vgprValuB_X1_I0+6+0+0], v[vgprValuA_X1_I0+10+0+0+1], a[188:191]
 // Ci += Ai*Br
/*  mfmaIndex:190  */
/* localReadsVacancy: latencyLeft 5 */
v_mfma_f32_16x16x4_f32 a[92+0:95+0], v[vgprValuB_X1_I0+6+0+0+1], v91, a[92:95]
 // Cr += -Ai*Bi
/*  mfmaIndex:191  */
/* localReadsVacancy: latencyLeft 5 */
v_mfma_f32_16x16x4_f32 a[188+0:191+0], v[vgprValuB_X1_I0+6+0+0+1], v[vgprValuA_X1_I0+10+0+0], a[188:191]
 // Ci += Ar*Bi
/* numPrefetchIter=0 */
/* dataAtIterA=0 numReadsIterA=2 skipReadsIterA=1 readsPerIterA=6 */
/* dataAtIterB=0 numReadsIterB=2 skipReadsIterB=1 readsPerIterB=4 */


/* iter 2 (last unrolled loop) */

/*  grEndMfmaIndex:0, lwStartMfmaIndex:374, lwEndMfmaIndex:374  */
/*  numMfmaForLR:7, barrierMfmaIndex:376, LocalWritePerMfma:0.105 */
/*  mfmaIndex:192  */
_ds_load_b64 v[vgprValuA_X1_I0+0:vgprValuA_X1_I0+0+1], v[vgprLocalReadAddrA] offset:9216 // L -> Reg lro=1152 swapByteOffset=0 ti=32 vIdx=0 rIdx=0 oIdx=0 buffer=1 iui=0
_ds_load_b64 v[vgprValuB_X1_I0+0:vgprValuB_X1_I0+0+1], v[vgprLocalReadAddrB] offset:96 // L -> Reg lro=12 swapByteOffset=0 ti=64 vIdx=0 rIdx=0 oIdx=0 buffer=1 iui=0
s_waitcnt lgkmcnt(2)                               // lgkmcnt=0 vmcnt=-1wait for prior local read local write old=0, new=2 newLW=0 newLR=2
v_add_f32 v91, -v[vgprValuA_X0_I0+0+0+0+1], 0      // Ai=-Ai
v_mfma_f32_16x16x4_f32 a[0+0:3+0], v[vgprValuB_X0_I0+0+0+0], v[vgprValuA_X0_I0+0+0+0], a[0:3]
 // Cr += Ar*Br
/*  mfmaIndex:193  */
_ds_load_b64 v[vgprValuA_X1_I0+2:vgprValuA_X1_I0+2+1], v[vgprLocalReadAddrA] offset:9224 // L -> Reg lro=1152 swapByteOffset=0 ti=32 vIdx=0 rIdx=0 oIdx=0 buffer=1 iui=0
_ds_load_b64 v[vgprValuA_X1_I0+4:vgprValuA_X1_I0+4+1], v[vgprLocalReadAddrA] offset:9472 // L -> Reg lro=1152 swapByteOffset=0 ti=32 vIdx=1 rIdx=0 oIdx=0 buffer=1 iui=0
v_mfma_f32_16x16x4_f32 a[96+0:99+0], v[vgprValuB_X0_I0+0+0+0], v[vgprValuA_X0_I0+0+0+0+1], a[96:99]
 // Ci += Ai*Br
/*  mfmaIndex:194  */
_ds_load_b64 v[vgprValuA_X1_I0+6:vgprValuA_X1_I0+6+1], v[vgprLocalReadAddrA] offset:9480 // L -> Reg lro=1152 swapByteOffset=0 ti=32 vIdx=1 rIdx=0 oIdx=0 buffer=1 iui=0
_ds_load_b64 v[vgprValuA_X1_I0+8:vgprValuA_X1_I0+8+1], v[vgprLocalReadAddrA] offset:9728 // L -> Reg lro=1152 swapByteOffset=0 ti=32 vIdx=2 rIdx=0 oIdx=0 buffer=1 iui=0
v_mfma_f32_16x16x4_f32 a[0+0:3+0], v[vgprValuB_X0_I0+0+0+0+1], v91, a[0:3]
 // Cr += -Ai*Bi
/*  mfmaIndex:195  */
_ds_load_b64 v[vgprValuA_X1_I0+10:vgprValuA_X1_I0+10+1], v[vgprLocalReadAddrA] offset:9736 // L -> Reg lro=1152 swapByteOffset=0 ti=32 vIdx=2 rIdx=0 oIdx=0 buffer=1 iui=0
_ds_load_b64 v[vgprValuB_X1_I0+2:vgprValuB_X1_I0+2+1], v[vgprLocalReadAddrB] offset:8800 // L -> Reg lro=12 swapByteOffset=0 ti=64 vIdx=1 rIdx=0 oIdx=0 buffer=1 iui=0
v_mfma_f32_16x16x4_f32 a[96+0:99+0], v[vgprValuB_X0_I0+0+0+0+1], v[vgprValuA_X0_I0+0+0+0], a[96:99]
 // Ci += Ar*Bi
/*  mfmaIndex:196  */
_ds_load_b64 v[vgprValuB_X1_I0+4:vgprValuB_X1_I0+4+1], v[vgprLocalReadAddrB] offset:17504 // L -> Reg lro=12 swapByteOffset=0 ti=64 vIdx=2 rIdx=0 oIdx=0 buffer=1 iui=0
_ds_load_b64 v[vgprValuB_X1_I0+6:vgprValuB_X1_I0+6+1], v[vgprLocalReadAddrB] offset:26208 // L -> Reg lro=12 swapByteOffset=0 ti=64 vIdx=3 rIdx=0 oIdx=0 buffer=1 iui=0
/* localReadsVacancy: latencyLeft 1 */
v_mfma_f32_16x16x4_f32 a[24+0:27+0], v[vgprValuB_X0_I0+2+0+0], v[vgprValuA_X0_I0+0+0+0], a[24:27]
 // Cr += Ar*Br
/*  mfmaIndex:197  */
/* localReadsVacancy: latencyLeft 5 */
v_mfma_f32_16x16x4_f32 a[120+0:123+0], v[vgprValuB_X0_I0+2+0+0], v[vgprValuA_X0_I0+0+0+0+1], a[120:123]
 // Ci += Ai*Br
/*  mfmaIndex:198  */
/* localReadsVacancy: latencyLeft 5 */
v_mfma_f32_16x16x4_f32 a[24+0:27+0], v[vgprValuB_X0_I0+2+0+0+1], v91, a[24:27]
 // Cr += -Ai*Bi
/*  mfmaIndex:199  */
/* localReadsVacancy: latencyLeft 5 */
v_mfma_f32_16x16x4_f32 a[120+0:123+0], v[vgprValuB_X0_I0+2+0+0+1], v[vgprValuA_X0_I0+0+0+0], a[120:123]
 // Ci += Ar*Bi
/*  mfmaIndex:200  */
/* localReadsVacancy: latencyLeft 5 */
v_mfma_f32_16x16x4_f32 a[48+0:51+0], v[vgprValuB_X0_I0+4+0+0], v[vgprValuA_X0_I0+0+0+0], a[48:51]
 // Cr += Ar*Br
/*  mfmaIndex:201  */
/* localReadsVacancy: latencyLeft 5 */
v_mfma_f32_16x16x4_f32 a[144+0:147+0], v[vgprValuB_X0_I0+4+0+0], v[vgprValuA_X0_I0+0+0+0+1], a[144:147]
 // Ci += Ai*Br
/*  mfmaIndex:202  */
/* localReadsVacancy: latencyLeft 5 */
v_mfma_f32_16x16x4_f32 a[48+0:51+0], v[vgprValuB_X0_I0+4+0+0+1], v91, a[48:51]
 // Cr += -Ai*Bi
/*  mfmaIndex:203  */
/* localReadsVacancy: latencyLeft 5 */
v_mfma_f32_16x16x4_f32 a[144+0:147+0], v[vgprValuB_X0_I0+4+0+0+1], v[vgprValuA_X0_I0+0+0+0], a[144:147]
 // Ci += Ar*Bi
/*  mfmaIndex:204  */
	;; [unrolled: 16-line block ×3, first 2 shown]
/* localReadsVacancy: latencyLeft 5 */
v_add_f32 v91, -v[vgprValuA_X0_I0+2+0+0+1], 0      // Ai=-Ai
v_mfma_f32_16x16x4_f32 a[4+0:7+0], v[vgprValuB_X0_I0+0+0+0], v[vgprValuA_X0_I0+2+0+0], a[4:7]
 // Cr += Ar*Br
/*  mfmaIndex:209  */
/* localReadsVacancy: latencyLeft 5 */
v_mfma_f32_16x16x4_f32 a[100+0:103+0], v[vgprValuB_X0_I0+0+0+0], v[vgprValuA_X0_I0+2+0+0+1], a[100:103]
 // Ci += Ai*Br
/*  mfmaIndex:210  */
/* localReadsVacancy: latencyLeft 5 */
v_mfma_f32_16x16x4_f32 a[4+0:7+0], v[vgprValuB_X0_I0+0+0+0+1], v91, a[4:7]
 // Cr += -Ai*Bi
/*  mfmaIndex:211  */
/* localReadsVacancy: latencyLeft 5 */
v_mfma_f32_16x16x4_f32 a[100+0:103+0], v[vgprValuB_X0_I0+0+0+0+1], v[vgprValuA_X0_I0+2+0+0], a[100:103]
 // Ci += Ar*Bi
/*  mfmaIndex:212  */
/* localReadsVacancy: latencyLeft 5 */
v_mfma_f32_16x16x4_f32 a[28+0:31+0], v[vgprValuB_X0_I0+2+0+0], v[vgprValuA_X0_I0+2+0+0], a[28:31]
 // Cr += Ar*Br
/*  mfmaIndex:213  */
/* localReadsVacancy: latencyLeft 5 */
v_mfma_f32_16x16x4_f32 a[124+0:127+0], v[vgprValuB_X0_I0+2+0+0], v[vgprValuA_X0_I0+2+0+0+1], a[124:127]
 // Ci += Ai*Br
/*  mfmaIndex:214  */
/* localReadsVacancy: latencyLeft 5 */
v_mfma_f32_16x16x4_f32 a[28+0:31+0], v[vgprValuB_X0_I0+2+0+0+1], v91, a[28:31]
 // Cr += -Ai*Bi
/*  mfmaIndex:215  */
/* localReadsVacancy: latencyLeft 5 */
v_mfma_f32_16x16x4_f32 a[124+0:127+0], v[vgprValuB_X0_I0+2+0+0+1], v[vgprValuA_X0_I0+2+0+0], a[124:127]
 // Ci += Ar*Bi
/*  mfmaIndex:216  */
/* localReadsVacancy: latencyLeft 5 */
	;; [unrolled: 16-line block ×4, first 2 shown]
v_add_f32 v91, -v[vgprValuA_X0_I0+4+0+0+1], 0      // Ai=-Ai
v_mfma_f32_16x16x4_f32 a[8+0:11+0], v[vgprValuB_X0_I0+0+0+0], v[vgprValuA_X0_I0+4+0+0], a[8:11]
 // Cr += Ar*Br
/*  mfmaIndex:225  */
/* localReadsVacancy: latencyLeft 5 */
v_mfma_f32_16x16x4_f32 a[104+0:107+0], v[vgprValuB_X0_I0+0+0+0], v[vgprValuA_X0_I0+4+0+0+1], a[104:107]
 // Ci += Ai*Br
/*  mfmaIndex:226  */
/* localReadsVacancy: latencyLeft 5 */
v_mfma_f32_16x16x4_f32 a[8+0:11+0], v[vgprValuB_X0_I0+0+0+0+1], v91, a[8:11]
 // Cr += -Ai*Bi
/*  mfmaIndex:227  */
/* localReadsVacancy: latencyLeft 5 */
v_mfma_f32_16x16x4_f32 a[104+0:107+0], v[vgprValuB_X0_I0+0+0+0+1], v[vgprValuA_X0_I0+4+0+0], a[104:107]
 // Ci += Ar*Bi
/*  mfmaIndex:228  */
/* localReadsVacancy: latencyLeft 5 */
v_mfma_f32_16x16x4_f32 a[32+0:35+0], v[vgprValuB_X0_I0+2+0+0], v[vgprValuA_X0_I0+4+0+0], a[32:35]
 // Cr += Ar*Br
/*  mfmaIndex:229  */
/* localReadsVacancy: latencyLeft 5 */
v_mfma_f32_16x16x4_f32 a[128+0:131+0], v[vgprValuB_X0_I0+2+0+0], v[vgprValuA_X0_I0+4+0+0+1], a[128:131]
 // Ci += Ai*Br
/*  mfmaIndex:230  */
/* localReadsVacancy: latencyLeft 5 */
v_mfma_f32_16x16x4_f32 a[32+0:35+0], v[vgprValuB_X0_I0+2+0+0+1], v91, a[32:35]
 // Cr += -Ai*Bi
/*  mfmaIndex:231  */
/* localReadsVacancy: latencyLeft 5 */
v_mfma_f32_16x16x4_f32 a[128+0:131+0], v[vgprValuB_X0_I0+2+0+0+1], v[vgprValuA_X0_I0+4+0+0], a[128:131]
 // Ci += Ar*Bi
/*  mfmaIndex:232  */
/* localReadsVacancy: latencyLeft 5 */
	;; [unrolled: 16-line block ×4, first 2 shown]
v_add_f32 v91, -v[vgprValuA_X0_I0+6+0+0+1], 0      // Ai=-Ai
v_mfma_f32_16x16x4_f32 a[12+0:15+0], v[vgprValuB_X0_I0+0+0+0], v[vgprValuA_X0_I0+6+0+0], a[12:15]
 // Cr += Ar*Br
/*  mfmaIndex:241  */
/* localReadsVacancy: latencyLeft 5 */
v_mfma_f32_16x16x4_f32 a[108+0:111+0], v[vgprValuB_X0_I0+0+0+0], v[vgprValuA_X0_I0+6+0+0+1], a[108:111]
 // Ci += Ai*Br
/*  mfmaIndex:242  */
/* localReadsVacancy: latencyLeft 5 */
v_mfma_f32_16x16x4_f32 a[12+0:15+0], v[vgprValuB_X0_I0+0+0+0+1], v91, a[12:15]
 // Cr += -Ai*Bi
/*  mfmaIndex:243  */
/* localReadsVacancy: latencyLeft 5 */
v_mfma_f32_16x16x4_f32 a[108+0:111+0], v[vgprValuB_X0_I0+0+0+0+1], v[vgprValuA_X0_I0+6+0+0], a[108:111]
 // Ci += Ar*Bi
/*  mfmaIndex:244  */
/* localReadsVacancy: latencyLeft 5 */
v_mfma_f32_16x16x4_f32 a[36+0:39+0], v[vgprValuB_X0_I0+2+0+0], v[vgprValuA_X0_I0+6+0+0], a[36:39]
 // Cr += Ar*Br
/*  mfmaIndex:245  */
/* localReadsVacancy: latencyLeft 5 */
v_mfma_f32_16x16x4_f32 a[132+0:135+0], v[vgprValuB_X0_I0+2+0+0], v[vgprValuA_X0_I0+6+0+0+1], a[132:135]
 // Ci += Ai*Br
/*  mfmaIndex:246  */
/* localReadsVacancy: latencyLeft 5 */
v_mfma_f32_16x16x4_f32 a[36+0:39+0], v[vgprValuB_X0_I0+2+0+0+1], v91, a[36:39]
 // Cr += -Ai*Bi
/*  mfmaIndex:247  */
/* localReadsVacancy: latencyLeft 5 */
v_mfma_f32_16x16x4_f32 a[132+0:135+0], v[vgprValuB_X0_I0+2+0+0+1], v[vgprValuA_X0_I0+6+0+0], a[132:135]
 // Ci += Ar*Bi
/*  mfmaIndex:248  */
/* localReadsVacancy: latencyLeft 5 */
	;; [unrolled: 16-line block ×4, first 2 shown]
v_add_f32 v91, -v[vgprValuA_X0_I0+8+0+0+1], 0      // Ai=-Ai
v_mfma_f32_16x16x4_f32 a[16+0:19+0], v[vgprValuB_X0_I0+0+0+0], v[vgprValuA_X0_I0+8+0+0], a[16:19]
 // Cr += Ar*Br
/*  mfmaIndex:257  */
/* localReadsVacancy: latencyLeft 5 */
v_mfma_f32_16x16x4_f32 a[112+0:115+0], v[vgprValuB_X0_I0+0+0+0], v[vgprValuA_X0_I0+8+0+0+1], a[112:115]
 // Ci += Ai*Br
/*  mfmaIndex:258  */
/* localReadsVacancy: latencyLeft 5 */
v_mfma_f32_16x16x4_f32 a[16+0:19+0], v[vgprValuB_X0_I0+0+0+0+1], v91, a[16:19]
 // Cr += -Ai*Bi
/*  mfmaIndex:259  */
/* localReadsVacancy: latencyLeft 5 */
v_mfma_f32_16x16x4_f32 a[112+0:115+0], v[vgprValuB_X0_I0+0+0+0+1], v[vgprValuA_X0_I0+8+0+0], a[112:115]
 // Ci += Ar*Bi
/*  mfmaIndex:260  */
/* localReadsVacancy: latencyLeft 5 */
v_mfma_f32_16x16x4_f32 a[40+0:43+0], v[vgprValuB_X0_I0+2+0+0], v[vgprValuA_X0_I0+8+0+0], a[40:43]
 // Cr += Ar*Br
/*  mfmaIndex:261  */
/* localReadsVacancy: latencyLeft 5 */
v_mfma_f32_16x16x4_f32 a[136+0:139+0], v[vgprValuB_X0_I0+2+0+0], v[vgprValuA_X0_I0+8+0+0+1], a[136:139]
 // Ci += Ai*Br
/*  mfmaIndex:262  */
/* localReadsVacancy: latencyLeft 5 */
v_mfma_f32_16x16x4_f32 a[40+0:43+0], v[vgprValuB_X0_I0+2+0+0+1], v91, a[40:43]
 // Cr += -Ai*Bi
/*  mfmaIndex:263  */
/* localReadsVacancy: latencyLeft 5 */
v_mfma_f32_16x16x4_f32 a[136+0:139+0], v[vgprValuB_X0_I0+2+0+0+1], v[vgprValuA_X0_I0+8+0+0], a[136:139]
 // Ci += Ar*Bi
/*  mfmaIndex:264  */
/* localReadsVacancy: latencyLeft 5 */
	;; [unrolled: 16-line block ×4, first 2 shown]
v_add_f32 v91, -v[vgprValuA_X0_I0+10+0+0+1], 0     // Ai=-Ai
v_mfma_f32_16x16x4_f32 a[20+0:23+0], v[vgprValuB_X0_I0+0+0+0], v[vgprValuA_X0_I0+10+0+0], a[20:23]
 // Cr += Ar*Br
/*  mfmaIndex:273  */
/* localReadsVacancy: latencyLeft 5 */
v_mfma_f32_16x16x4_f32 a[116+0:119+0], v[vgprValuB_X0_I0+0+0+0], v[vgprValuA_X0_I0+10+0+0+1], a[116:119]
 // Ci += Ai*Br
/*  mfmaIndex:274  */
/* localReadsVacancy: latencyLeft 5 */
v_mfma_f32_16x16x4_f32 a[20+0:23+0], v[vgprValuB_X0_I0+0+0+0+1], v91, a[20:23]
 // Cr += -Ai*Bi
/*  mfmaIndex:275  */
/* localReadsVacancy: latencyLeft 5 */
v_mfma_f32_16x16x4_f32 a[116+0:119+0], v[vgprValuB_X0_I0+0+0+0+1], v[vgprValuA_X0_I0+10+0+0], a[116:119]
 // Ci += Ar*Bi
/*  mfmaIndex:276  */
/* localReadsVacancy: latencyLeft 5 */
v_mfma_f32_16x16x4_f32 a[44+0:47+0], v[vgprValuB_X0_I0+2+0+0], v[vgprValuA_X0_I0+10+0+0], a[44:47]
 // Cr += Ar*Br
/*  mfmaIndex:277  */
/* localReadsVacancy: latencyLeft 5 */
v_mfma_f32_16x16x4_f32 a[140+0:143+0], v[vgprValuB_X0_I0+2+0+0], v[vgprValuA_X0_I0+10+0+0+1], a[140:143]
 // Ci += Ai*Br
/*  mfmaIndex:278  */
/* localReadsVacancy: latencyLeft 5 */
v_mfma_f32_16x16x4_f32 a[44+0:47+0], v[vgprValuB_X0_I0+2+0+0+1], v91, a[44:47]
 // Cr += -Ai*Bi
/*  mfmaIndex:279  */
/* localReadsVacancy: latencyLeft 5 */
v_mfma_f32_16x16x4_f32 a[140+0:143+0], v[vgprValuB_X0_I0+2+0+0+1], v[vgprValuA_X0_I0+10+0+0], a[140:143]
 // Ci += Ar*Bi
/*  mfmaIndex:280  */
/* localReadsVacancy: latencyLeft 5 */
	;; [unrolled: 16-line block ×3, first 2 shown]
v_mfma_f32_16x16x4_f32 a[92+0:95+0], v[vgprValuB_X0_I0+6+0+0], v[vgprValuA_X0_I0+10+0+0], a[92:95]
 // Cr += Ar*Br
/*  mfmaIndex:285  */
/* localReadsVacancy: latencyLeft 5 */
v_mfma_f32_16x16x4_f32 a[188+0:191+0], v[vgprValuB_X0_I0+6+0+0], v[vgprValuA_X0_I0+10+0+0+1], a[188:191]
 // Ci += Ai*Br
/*  mfmaIndex:286  */
/* localReadsVacancy: latencyLeft 5 */
v_mfma_f32_16x16x4_f32 a[92+0:95+0], v[vgprValuB_X0_I0+6+0+0+1], v91, a[92:95]
 // Cr += -Ai*Bi
/*  mfmaIndex:287  */
/* localReadsVacancy: latencyLeft 5 */
v_mfma_f32_16x16x4_f32 a[188+0:191+0], v[vgprValuB_X0_I0+6+0+0+1], v[vgprValuA_X0_I0+10+0+0], a[188:191]
 // Ci += Ar*Bi
/* numPrefetchIter=0 */
/* dataAtIterA=1 numReadsIterA=3 skipReadsIterA=1 readsPerIterA=6 */
/* dataAtIterB=1 numReadsIterB=3 skipReadsIterB=1 readsPerIterB=4 */


/* iter 3 (last unrolled loop) */

/*  grEndMfmaIndex:0, lwStartMfmaIndex:374, lwEndMfmaIndex:374  */
/*  numMfmaForLR:7, barrierMfmaIndex:376, LocalWritePerMfma:0.105 */
/*  mfmaIndex:288  */
s_waitcnt lgkmcnt(0)                               // lgkmcnt=0 vmcnt=-1wait for prior local read local write old=0, new=0 newLW=0 newLR=0
v_add_f32 v91, -v[vgprValuA_X1_I0+0+0+0+1], 0      // Ai=-Ai
v_mfma_f32_16x16x4_f32 a[0+0:3+0], v[vgprValuB_X1_I0+0+0+0], v[vgprValuA_X1_I0+0+0+0], a[0:3]
 // Cr += Ar*Br
/*  mfmaIndex:289  */
v_mfma_f32_16x16x4_f32 a[96+0:99+0], v[vgprValuB_X1_I0+0+0+0], v[vgprValuA_X1_I0+0+0+0+1], a[96:99]
 // Ci += Ai*Br
/*  mfmaIndex:290  */
v_mfma_f32_16x16x4_f32 a[0+0:3+0], v[vgprValuB_X1_I0+0+0+0+1], v91, a[0:3]
 // Cr += -Ai*Bi
/*  mfmaIndex:291  */
v_mfma_f32_16x16x4_f32 a[96+0:99+0], v[vgprValuB_X1_I0+0+0+0+1], v[vgprValuA_X1_I0+0+0+0], a[96:99]
 // Ci += Ar*Bi
/*  mfmaIndex:292  */
v_mfma_f32_16x16x4_f32 a[24+0:27+0], v[vgprValuB_X1_I0+2+0+0], v[vgprValuA_X1_I0+0+0+0], a[24:27]
 // Cr += Ar*Br
/*  mfmaIndex:293  */
v_mfma_f32_16x16x4_f32 a[120+0:123+0], v[vgprValuB_X1_I0+2+0+0], v[vgprValuA_X1_I0+0+0+0+1], a[120:123]
 // Ci += Ai*Br
/*  mfmaIndex:294  */
v_mfma_f32_16x16x4_f32 a[24+0:27+0], v[vgprValuB_X1_I0+2+0+0+1], v91, a[24:27]
 // Cr += -Ai*Bi
/*  mfmaIndex:295  */
v_mfma_f32_16x16x4_f32 a[120+0:123+0], v[vgprValuB_X1_I0+2+0+0+1], v[vgprValuA_X1_I0+0+0+0], a[120:123]
 // Ci += Ar*Bi
/*  mfmaIndex:296  */
v_mfma_f32_16x16x4_f32 a[48+0:51+0], v[vgprValuB_X1_I0+4+0+0], v[vgprValuA_X1_I0+0+0+0], a[48:51]
 // Cr += Ar*Br
/*  mfmaIndex:297  */
v_mfma_f32_16x16x4_f32 a[144+0:147+0], v[vgprValuB_X1_I0+4+0+0], v[vgprValuA_X1_I0+0+0+0+1], a[144:147]
 // Ci += Ai*Br
/*  mfmaIndex:298  */
v_mfma_f32_16x16x4_f32 a[48+0:51+0], v[vgprValuB_X1_I0+4+0+0+1], v91, a[48:51]
 // Cr += -Ai*Bi
/*  mfmaIndex:299  */
v_mfma_f32_16x16x4_f32 a[144+0:147+0], v[vgprValuB_X1_I0+4+0+0+1], v[vgprValuA_X1_I0+0+0+0], a[144:147]
 // Ci += Ar*Bi
/*  mfmaIndex:300  */
v_mfma_f32_16x16x4_f32 a[72+0:75+0], v[vgprValuB_X1_I0+6+0+0], v[vgprValuA_X1_I0+0+0+0], a[72:75]
 // Cr += Ar*Br
/*  mfmaIndex:301  */
v_mfma_f32_16x16x4_f32 a[168+0:171+0], v[vgprValuB_X1_I0+6+0+0], v[vgprValuA_X1_I0+0+0+0+1], a[168:171]
 // Ci += Ai*Br
/*  mfmaIndex:302  */
v_mfma_f32_16x16x4_f32 a[72+0:75+0], v[vgprValuB_X1_I0+6+0+0+1], v91, a[72:75]
 // Cr += -Ai*Bi
/*  mfmaIndex:303  */
v_mfma_f32_16x16x4_f32 a[168+0:171+0], v[vgprValuB_X1_I0+6+0+0+1], v[vgprValuA_X1_I0+0+0+0], a[168:171]
 // Ci += Ar*Bi
/*  mfmaIndex:304  */
v_add_f32 v91, -v[vgprValuA_X1_I0+2+0+0+1], 0      // Ai=-Ai
v_mfma_f32_16x16x4_f32 a[4+0:7+0], v[vgprValuB_X1_I0+0+0+0], v[vgprValuA_X1_I0+2+0+0], a[4:7]
 // Cr += Ar*Br
/*  mfmaIndex:305  */
v_mfma_f32_16x16x4_f32 a[100+0:103+0], v[vgprValuB_X1_I0+0+0+0], v[vgprValuA_X1_I0+2+0+0+1], a[100:103]
 // Ci += Ai*Br
/*  mfmaIndex:306  */
v_mfma_f32_16x16x4_f32 a[4+0:7+0], v[vgprValuB_X1_I0+0+0+0+1], v91, a[4:7]
 // Cr += -Ai*Bi
/*  mfmaIndex:307  */
v_mfma_f32_16x16x4_f32 a[100+0:103+0], v[vgprValuB_X1_I0+0+0+0+1], v[vgprValuA_X1_I0+2+0+0], a[100:103]
 // Ci += Ar*Bi
/*  mfmaIndex:308  */
v_mfma_f32_16x16x4_f32 a[28+0:31+0], v[vgprValuB_X1_I0+2+0+0], v[vgprValuA_X1_I0+2+0+0], a[28:31]
 // Cr += Ar*Br
/*  mfmaIndex:309  */
v_mfma_f32_16x16x4_f32 a[124+0:127+0], v[vgprValuB_X1_I0+2+0+0], v[vgprValuA_X1_I0+2+0+0+1], a[124:127]
 // Ci += Ai*Br
/*  mfmaIndex:310  */
v_mfma_f32_16x16x4_f32 a[28+0:31+0], v[vgprValuB_X1_I0+2+0+0+1], v91, a[28:31]
 // Cr += -Ai*Bi
/*  mfmaIndex:311  */
v_mfma_f32_16x16x4_f32 a[124+0:127+0], v[vgprValuB_X1_I0+2+0+0+1], v[vgprValuA_X1_I0+2+0+0], a[124:127]
 // Ci += Ar*Bi
/*  mfmaIndex:312  */
v_mfma_f32_16x16x4_f32 a[52+0:55+0], v[vgprValuB_X1_I0+4+0+0], v[vgprValuA_X1_I0+2+0+0], a[52:55]
 // Cr += Ar*Br
/*  mfmaIndex:313  */
v_mfma_f32_16x16x4_f32 a[148+0:151+0], v[vgprValuB_X1_I0+4+0+0], v[vgprValuA_X1_I0+2+0+0+1], a[148:151]
 // Ci += Ai*Br
/*  mfmaIndex:314  */
v_mfma_f32_16x16x4_f32 a[52+0:55+0], v[vgprValuB_X1_I0+4+0+0+1], v91, a[52:55]
 // Cr += -Ai*Bi
/*  mfmaIndex:315  */
v_mfma_f32_16x16x4_f32 a[148+0:151+0], v[vgprValuB_X1_I0+4+0+0+1], v[vgprValuA_X1_I0+2+0+0], a[148:151]
 // Ci += Ar*Bi
/*  mfmaIndex:316  */
v_mfma_f32_16x16x4_f32 a[76+0:79+0], v[vgprValuB_X1_I0+6+0+0], v[vgprValuA_X1_I0+2+0+0], a[76:79]
 // Cr += Ar*Br
/*  mfmaIndex:317  */
v_mfma_f32_16x16x4_f32 a[172+0:175+0], v[vgprValuB_X1_I0+6+0+0], v[vgprValuA_X1_I0+2+0+0+1], a[172:175]
 // Ci += Ai*Br
/*  mfmaIndex:318  */
v_mfma_f32_16x16x4_f32 a[76+0:79+0], v[vgprValuB_X1_I0+6+0+0+1], v91, a[76:79]
 // Cr += -Ai*Bi
/*  mfmaIndex:319  */
v_mfma_f32_16x16x4_f32 a[172+0:175+0], v[vgprValuB_X1_I0+6+0+0+1], v[vgprValuA_X1_I0+2+0+0], a[172:175]
 // Ci += Ar*Bi
/*  mfmaIndex:320  */
	;; [unrolled: 49-line block ×5, first 2 shown]
v_add_f32 v91, -v[vgprValuA_X1_I0+10+0+0+1], 0     // Ai=-Ai
v_mfma_f32_16x16x4_f32 a[20+0:23+0], v[vgprValuB_X1_I0+0+0+0], v[vgprValuA_X1_I0+10+0+0], a[20:23]
 // Cr += Ar*Br
/*  mfmaIndex:369  */
v_mfma_f32_16x16x4_f32 a[116+0:119+0], v[vgprValuB_X1_I0+0+0+0], v[vgprValuA_X1_I0+10+0+0+1], a[116:119]
 // Ci += Ai*Br
/*  mfmaIndex:370  */
v_mfma_f32_16x16x4_f32 a[20+0:23+0], v[vgprValuB_X1_I0+0+0+0+1], v91, a[20:23]
 // Cr += -Ai*Bi
/*  mfmaIndex:371  */
v_mfma_f32_16x16x4_f32 a[116+0:119+0], v[vgprValuB_X1_I0+0+0+0+1], v[vgprValuA_X1_I0+10+0+0], a[116:119]
 // Ci += Ar*Bi
/*  mfmaIndex:372  */
v_mfma_f32_16x16x4_f32 a[44+0:47+0], v[vgprValuB_X1_I0+2+0+0], v[vgprValuA_X1_I0+10+0+0], a[44:47]
 // Cr += Ar*Br
/*  mfmaIndex:373  */
/* 1 LDS buffer: read-sync-write */
s_waitcnt lgkmcnt(0)                               // 
s_barrier                                          // 
v_mfma_f32_16x16x4_f32 a[140+0:143+0], v[vgprValuB_X1_I0+2+0+0], v[vgprValuA_X1_I0+10+0+0+1], a[140:143]
 // Ci += Ai*Br
/*  mfmaIndex:374  */
v_mfma_f32_16x16x4_f32 a[44+0:47+0], v[vgprValuB_X1_I0+2+0+0+1], v91, a[44:47]
 // Cr += -Ai*Bi
/*  mfmaIndex:375  */
v_mfma_f32_16x16x4_f32 a[140+0:143+0], v[vgprValuB_X1_I0+2+0+0+1], v[vgprValuA_X1_I0+10+0+0], a[140:143]
 // Ci += Ar*Bi
/*  mfmaIndex:376  */
v_mfma_f32_16x16x4_f32 a[68+0:71+0], v[vgprValuB_X1_I0+4+0+0], v[vgprValuA_X1_I0+10+0+0], a[68:71]
 // Cr += Ar*Br
/*  mfmaIndex:377  */
v_mfma_f32_16x16x4_f32 a[164+0:167+0], v[vgprValuB_X1_I0+4+0+0], v[vgprValuA_X1_I0+10+0+0+1], a[164:167]
 // Ci += Ai*Br
/*  mfmaIndex:378  */
v_mfma_f32_16x16x4_f32 a[68+0:71+0], v[vgprValuB_X1_I0+4+0+0+1], v91, a[68:71]
 // Cr += -Ai*Bi
/*  mfmaIndex:379  */
v_mfma_f32_16x16x4_f32 a[164+0:167+0], v[vgprValuB_X1_I0+4+0+0+1], v[vgprValuA_X1_I0+10+0+0], a[164:167]
 // Ci += Ar*Bi
/*  mfmaIndex:380  */
v_mfma_f32_16x16x4_f32 a[92+0:95+0], v[vgprValuB_X1_I0+6+0+0], v[vgprValuA_X1_I0+10+0+0], a[92:95]
 // Cr += Ar*Br
/*  mfmaIndex:381  */
v_mfma_f32_16x16x4_f32 a[188+0:191+0], v[vgprValuB_X1_I0+6+0+0], v[vgprValuA_X1_I0+10+0+0+1], a[188:191]
 // Ci += Ai*Br
/*  mfmaIndex:382  */
v_mfma_f32_16x16x4_f32 a[92+0:95+0], v[vgprValuB_X1_I0+6+0+0+1], v91, a[92:95]
 // Cr += -Ai*Bi
/*  mfmaIndex:383  */
v_mfma_f32_16x16x4_f32 a[188+0:191+0], v[vgprValuB_X1_I0+6+0+0+1], v[vgprValuA_X1_I0+10+0+0], a[188:191]
 // Ci += Ar*Bi
/* numPrefetchIter=0 */
/* dataAtIterA=2 numReadsIterA=3 skipReadsIterA=0 readsPerIterA=6 */
/* dataAtIterB=2 numReadsIterB=3 skipReadsIterB=0 readsPerIterB=4 */

PrefetchGlobalLastIterEnd_5:


/******************************************/
/* Tail Loop                              */
/******************************************/


/* local write reset offsets a */


	;; [unrolled: 1-line block ×4, first 2 shown]
/* local write reset offsets b */


	;; [unrolled: 1-line block ×4, first 2 shown]
//numIterL = (((sizeL % LOCAL_DEPTHU) + LOCAL_SPLITU - 1) / LOCAL_SPLITU)
s_and_b32 s[sgprLoopCounterL], 15, s[sgprSizesSum+0] // s[sgprLoopCounterL] = s[sgprSizesSum+0] % 16
s_cmp_lg_u32 s[sgprGSUSumIdx], s[sgprGSUSumIdx+1]  // gsuSumIdx == numIterPerWgRemainder
s_cmov_b32 s[sgprLoopCounterL], 0x0                // numIter=0 if gsuSumIdx!=remainder
s_cmp_eq_u32 s[sgprLoopCounterL], 0x0              // numIterL == 0
s_cbranch_scc1 SkipTailLoopL_8                     // skip to end of tail loop b/c numIter==0
s_mov_b32 s[sgprOrigLoopCounter], 0                // repurpose to count each localRead increment


/* Update M0 for DTLDS */


	;; [unrolled: 1-line block ×3, first 2 shown]
/* global read a */

/* g2l=0, load component 0 */
_buffer_load_b64 v[vgprG2LA+0+0:vgprG2LA+0+0+1], v[vgprGlobalReadOffsetA+0], s[sgprSrdA:sgprSrdA+3], 0, offen offset:0 // load one buffer value
/* g2l=0, load component 1 */
_buffer_load_b64 v[vgprG2LA+0+2:vgprG2LA+0+2+1], v[vgprGlobalReadOffsetA+0], s[sgprSrdA:sgprSrdA+3], 0, offen offset:8 // load one buffer value
/* g2l=4, load component 0 */
_buffer_load_b64 v[vgprG2LA+4+0:vgprG2LA+4+0+1], v[vgprGlobalReadOffsetA+0], s[sgprSrdA:sgprSrdA+3], s[sgprScalarGlobalReadOffsetA+0], offen offset:0 // load one buffer value
/* g2l=4, load component 1 */
_buffer_load_b64 v[vgprG2LA+4+2:vgprG2LA+4+2+1], v[vgprGlobalReadOffsetA+0], s[sgprSrdA:sgprSrdA+3], s[sgprScalarGlobalReadOffsetA+0], offen offset:8 // load one buffer value
	;; [unrolled: 2-line block ×4, first 2 shown]


/* Update M0 for DTLDS */


	;; [unrolled: 1-line block ×3, first 2 shown]
/* global read b */

/* g2l=0, load component 0 */
_buffer_load_b64 v[vgprG2LB+0+0:vgprG2LB+0+0+1], v[vgprGlobalReadOffsetB+0], s[sgprSrdB:sgprSrdB+3], 0, offen offset:0 // load one buffer value
/* g2l=2, load component 0 */
_buffer_load_b64 v[vgprG2LB+2+0:vgprG2LB+2+0+1], v[vgprGlobalReadOffsetB+0], s[sgprSrdB:sgprSrdB+3], s[sgprScalarGlobalReadOffsetB+0], offen offset:0 // load one buffer value
/* g2l=4, load component 0 */
_buffer_load_b64 v[vgprG2LB+4+0:vgprG2LB+4+0+1], v[vgprGlobalReadOffsetB+0], s[sgprSrdB:sgprSrdB+3], s[sgprScalarGlobalReadOffsetB+1], offen offset:0 // load one buffer value
	;; [unrolled: 2-line block ×15, first 2 shown]

s_waitcnt vmcnt(0)                                 // lgkmcnt=-1 vmcnt=02wait for global read

// Skip force waitcnt0
s_barrier //


/* Done global A/B reads */


	;; [unrolled: 1-line block ×4, first 2 shown]
/* local write a */

_ds_store_b128 v[vgprLocalWriteAddrA], v[vgprG2LA+0:vgprG2LA+0+3] offset:0 // lwoA_0_0_0_0 = (0*LSCA) + (0*LSPA)(*MT0I+PAD) = 0
_ds_store_b128 v[vgprLocalWriteAddrA], v[vgprG2LA+4:vgprG2LA+4+3] offset:256 // lwoA_1_0_0_0 = (1*LSCA) + (0*LSPA)(*MT0I+PAD) = 256
_ds_store_b128 v[vgprLocalWriteAddrA], v[vgprG2LA+8:vgprG2LA+8+3] offset:512 // lwoA_2_0_0_0 = (2*LSCA) + (0*LSPA)(*MT0I+PAD) = 512


/* local write b */

_ds_store_b64 v[vgprLocalWriteAddrB], v[vgprG2LB+0:vgprG2LB+0+1] offset:0 // lwoB_0_0_0_0 = (0*LSCB)*(MT1J+PAD) + (0*LSPB) = 0
_ds_store_b64 v[vgprLocalWriteAddrB], v[vgprG2LB+2:vgprG2LB+2+1] offset:2176 // lwoB_0_0_1_0 = (0*LSCB)*(MT1J+PAD) + (1*LSPB) = 2176
_ds_store_b64 v[vgprLocalWriteAddrB], v[vgprG2LB+4:vgprG2LB+4+1] offset:4352 // lwoB_0_0_2_0 = (0*LSCB)*(MT1J+PAD) + (2*LSPB) = 4352
_ds_store_b64 v[vgprLocalWriteAddrB], v[vgprG2LB+6:vgprG2LB+6+1] offset:6528 // lwoB_0_0_3_0 = (0*LSCB)*(MT1J+PAD) + (3*LSPB) = 6528
_ds_store_b64 v[vgprLocalWriteAddrB], v[vgprG2LB+8:vgprG2LB+8+1] offset:8704 // lwoB_0_0_4_0 = (0*LSCB)*(MT1J+PAD) + (4*LSPB) = 8704
_ds_store_b64 v[vgprLocalWriteAddrB], v[vgprG2LB+10:vgprG2LB+10+1] offset:10880 // lwoB_0_0_5_0 = (0*LSCB)*(MT1J+PAD) + (5*LSPB) = 10880
_ds_store_b64 v[vgprLocalWriteAddrB], v[vgprG2LB+12:vgprG2LB+12+1] offset:13056 // lwoB_0_0_6_0 = (0*LSCB)*(MT1J+PAD) + (6*LSPB) = 13056
_ds_store_b64 v[vgprLocalWriteAddrB], v[vgprG2LB+14:vgprG2LB+14+1] offset:15232 // lwoB_0_0_7_0 = (0*LSCB)*(MT1J+PAD) + (7*LSPB) = 15232
_ds_store_b64 v[vgprLocalWriteAddrB], v[vgprG2LB+16:vgprG2LB+16+1] offset:17408 // lwoB_0_0_8_0 = (0*LSCB)*(MT1J+PAD) + (8*LSPB) = 17408
_ds_store_b64 v[vgprLocalWriteAddrB], v[vgprG2LB+18:vgprG2LB+18+1] offset:19584 // lwoB_0_0_9_0 = (0*LSCB)*(MT1J+PAD) + (9*LSPB) = 19584
_ds_store_b64 v[vgprLocalWriteAddrB], v[vgprG2LB+20:vgprG2LB+20+1] offset:21760 // lwoB_0_0_10_0 = (0*LSCB)*(MT1J+PAD) + (10*LSPB) = 21760
_ds_store_b64 v[vgprLocalWriteAddrB], v[vgprG2LB+22:vgprG2LB+22+1] offset:23936 // lwoB_0_0_11_0 = (0*LSCB)*(MT1J+PAD) + (11*LSPB) = 23936
_ds_store_b64 v[vgprLocalWriteAddrB], v[vgprG2LB+24:vgprG2LB+24+1] offset:26112 // lwoB_0_0_12_0 = (0*LSCB)*(MT1J+PAD) + (12*LSPB) = 26112
_ds_store_b64 v[vgprLocalWriteAddrB], v[vgprG2LB+26:vgprG2LB+26+1] offset:28288 // lwoB_0_0_13_0 = (0*LSCB)*(MT1J+PAD) + (13*LSPB) = 28288
_ds_store_b64 v[vgprLocalWriteAddrB], v[vgprG2LB+28:vgprG2LB+28+1] offset:30464 // lwoB_0_0_14_0 = (0*LSCB)*(MT1J+PAD) + (14*LSPB) = 30464
_ds_store_b64 v[vgprLocalWriteAddrB], v[vgprG2LB+30:vgprG2LB+30+1] offset:32640 // lwoB_0_0_15_0 = (0*LSCB)*(MT1J+PAD) + (15*LSPB) = 32640


/* Recalc local read offsets */


s_waitcnt lgkmcnt(0)                               // lgkmcnt=0 vmcnt=-15wait for local write

// Skip force waitcnt0
s_barrier //


/* local read reset offsets a */


	;; [unrolled: 1-line block ×3, first 2 shown]
/* local read reset offsets b */


	;; [unrolled: 1-line block ×3, first 2 shown]
/* local read init pointers a */


/* localReadInitPointers */


/* local read init pointers b */


/* localReadInitPointers */


/* tail loop: macs */

TailLoopBeginL_6:


/* tail loop unroll iter 0 */


/* local read a */

_ds_load_b64 v[vgprValuA_X0_I0+0:vgprValuA_X0_I0+0+1], v[vgprLocalReadAddrA] offset:0 // L -> Reg lro=0 swapByteOffset=0 ti=32 vIdx=0 rIdx=0 oIdx=0 buffer=0 iui=0
_ds_load_b64 v[vgprValuA_X0_I0+2:vgprValuA_X0_I0+2+1], v[vgprLocalReadAddrA] offset:8 // L -> Reg lro=0 swapByteOffset=0 ti=32 vIdx=0 rIdx=0 oIdx=0 buffer=0 iui=0
	;; [unrolled: 1-line block ×6, first 2 shown]


/* local read b */

_ds_load_b64 v[vgprValuB_X0_I0+0:vgprValuB_X0_I0+0+1], v[vgprLocalReadAddrB] offset:0 // L -> Reg lro=0 swapByteOffset=0 ti=64 vIdx=0 rIdx=0 oIdx=0 buffer=0 iui=0
_ds_load_b64 v[vgprValuB_X0_I0+2:vgprValuB_X0_I0+2+1], v[vgprLocalReadAddrB] offset:8704 // L -> Reg lro=0 swapByteOffset=0 ti=64 vIdx=1 rIdx=0 oIdx=0 buffer=0 iui=0
	;; [unrolled: 1-line block ×4, first 2 shown]


/* local read inc a */

s_mov_b32 s10, 0xc00                               // inc
_v_add_co_u32 v[vgprLocalReadAddrA], vcc, s10, v[vgprLocalReadAddrA] // lrA += 3072 (LSU*(MT+PAD)*bpe)


/* local read inc b */

s_mov_b32 s10, 0x20                                // inc
_v_add_co_u32 v[vgprLocalReadAddrB], vcc, s10, v[vgprLocalReadAddrB] // lrB += 32 (LSU*bpe)

s_waitcnt lgkmcnt(0)                               // lgkmcnt=0 vmcnt=-14wait for local read


	;; [unrolled: 1-line block ×3, first 2 shown]
/* tail loop mfma iter 0: numReadsIterCoalescedA=1, numReadsIterCoalescedB=1 */
v_and_b32 v91, 63, v[vgprSerial]                   // v91 = v[vgprSerial] % 64
v_lshrrev_b32 v91, 4, v91                          // v91 = v91 / 16
                                                   // v91 = v91 * 1 (multiplier is 1, do nothing)
v_cmp_ge_i32 s[74:75], v91, s[sgprLoopCounterL]    // check K index >= Size L
v_cndmask_b32 v[vgprValuB_X0_I0+0+0+0+0], v[vgprValuB_X0_I0+0+0+0+0], 0x0, s[74:75] // set 0 if K_idx >= sizeL
v_cndmask_b32 v[vgprValuB_X0_I0+2+0+0+0], v[vgprValuB_X0_I0+2+0+0+0], 0x0, s[74:75] // set 0 if K_idx >= sizeL
v_cndmask_b32 v[vgprValuB_X0_I0+4+0+0+0], v[vgprValuB_X0_I0+4+0+0+0], 0x0, s[74:75] // set 0 if K_idx >= sizeL
v_cndmask_b32 v[vgprValuB_X0_I0+6+0+0+0], v[vgprValuB_X0_I0+6+0+0+0], 0x0, s[74:75] // set 0 if K_idx >= sizeL
v_cndmask_b32 v[vgprValuB_X0_I0+0+0+0+1], v[vgprValuB_X0_I0+0+0+0+1], 0x0, s[74:75] // set 0 if K_idx >= sizeL
v_cndmask_b32 v[vgprValuB_X0_I0+2+0+0+1], v[vgprValuB_X0_I0+2+0+0+1], 0x0, s[74:75] // set 0 if K_idx >= sizeL
v_cndmask_b32 v[vgprValuB_X0_I0+4+0+0+1], v[vgprValuB_X0_I0+4+0+0+1], 0x0, s[74:75] // set 0 if K_idx >= sizeL
v_cndmask_b32 v[vgprValuB_X0_I0+6+0+0+1], v[vgprValuB_X0_I0+6+0+0+1], 0x0, s[74:75] // set 0 if K_idx >= sizeL
s_nop 1
v_add_f32 v91, -v[vgprValuA_X0_I0+0+0+0+1], 0      // Ai=-Ai
v_mfma_f32_16x16x4_f32 a[0+0:3+0], v[vgprValuB_X0_I0+0+0+0], v[vgprValuA_X0_I0+0+0+0], a[0:3]
 // Cr += Ar*Br
v_mfma_f32_16x16x4_f32 a[96+0:99+0], v[vgprValuB_X0_I0+0+0+0], v[vgprValuA_X0_I0+0+0+0+1], a[96:99]
 // Ci += Ai*Br
v_mfma_f32_16x16x4_f32 a[0+0:3+0], v[vgprValuB_X0_I0+0+0+0+1], v91, a[0:3]
 // Cr += -Ai*Bi
v_mfma_f32_16x16x4_f32 a[96+0:99+0], v[vgprValuB_X0_I0+0+0+0+1], v[vgprValuA_X0_I0+0+0+0], a[96:99]
 // Ci += Ar*Bi
v_mfma_f32_16x16x4_f32 a[24+0:27+0], v[vgprValuB_X0_I0+2+0+0], v[vgprValuA_X0_I0+0+0+0], a[24:27]
 // Cr += Ar*Br
v_mfma_f32_16x16x4_f32 a[120+0:123+0], v[vgprValuB_X0_I0+2+0+0], v[vgprValuA_X0_I0+0+0+0+1], a[120:123]
 // Ci += Ai*Br
v_mfma_f32_16x16x4_f32 a[24+0:27+0], v[vgprValuB_X0_I0+2+0+0+1], v91, a[24:27]
 // Cr += -Ai*Bi
v_mfma_f32_16x16x4_f32 a[120+0:123+0], v[vgprValuB_X0_I0+2+0+0+1], v[vgprValuA_X0_I0+0+0+0], a[120:123]
 // Ci += Ar*Bi
v_mfma_f32_16x16x4_f32 a[48+0:51+0], v[vgprValuB_X0_I0+4+0+0], v[vgprValuA_X0_I0+0+0+0], a[48:51]
 // Cr += Ar*Br
v_mfma_f32_16x16x4_f32 a[144+0:147+0], v[vgprValuB_X0_I0+4+0+0], v[vgprValuA_X0_I0+0+0+0+1], a[144:147]
 // Ci += Ai*Br
v_mfma_f32_16x16x4_f32 a[48+0:51+0], v[vgprValuB_X0_I0+4+0+0+1], v91, a[48:51]
 // Cr += -Ai*Bi
v_mfma_f32_16x16x4_f32 a[144+0:147+0], v[vgprValuB_X0_I0+4+0+0+1], v[vgprValuA_X0_I0+0+0+0], a[144:147]
 // Ci += Ar*Bi
v_mfma_f32_16x16x4_f32 a[72+0:75+0], v[vgprValuB_X0_I0+6+0+0], v[vgprValuA_X0_I0+0+0+0], a[72:75]
 // Cr += Ar*Br
v_mfma_f32_16x16x4_f32 a[168+0:171+0], v[vgprValuB_X0_I0+6+0+0], v[vgprValuA_X0_I0+0+0+0+1], a[168:171]
 // Ci += Ai*Br
v_mfma_f32_16x16x4_f32 a[72+0:75+0], v[vgprValuB_X0_I0+6+0+0+1], v91, a[72:75]
 // Cr += -Ai*Bi
v_mfma_f32_16x16x4_f32 a[168+0:171+0], v[vgprValuB_X0_I0+6+0+0+1], v[vgprValuA_X0_I0+0+0+0], a[168:171]
 // Ci += Ar*Bi
v_add_f32 v91, -v[vgprValuA_X0_I0+2+0+0+1], 0      // Ai=-Ai
v_mfma_f32_16x16x4_f32 a[4+0:7+0], v[vgprValuB_X0_I0+0+0+0], v[vgprValuA_X0_I0+2+0+0], a[4:7]
 // Cr += Ar*Br
v_mfma_f32_16x16x4_f32 a[100+0:103+0], v[vgprValuB_X0_I0+0+0+0], v[vgprValuA_X0_I0+2+0+0+1], a[100:103]
 // Ci += Ai*Br
v_mfma_f32_16x16x4_f32 a[4+0:7+0], v[vgprValuB_X0_I0+0+0+0+1], v91, a[4:7]
 // Cr += -Ai*Bi
v_mfma_f32_16x16x4_f32 a[100+0:103+0], v[vgprValuB_X0_I0+0+0+0+1], v[vgprValuA_X0_I0+2+0+0], a[100:103]
 // Ci += Ar*Bi
v_mfma_f32_16x16x4_f32 a[28+0:31+0], v[vgprValuB_X0_I0+2+0+0], v[vgprValuA_X0_I0+2+0+0], a[28:31]
 // Cr += Ar*Br
v_mfma_f32_16x16x4_f32 a[124+0:127+0], v[vgprValuB_X0_I0+2+0+0], v[vgprValuA_X0_I0+2+0+0+1], a[124:127]
 // Ci += Ai*Br
v_mfma_f32_16x16x4_f32 a[28+0:31+0], v[vgprValuB_X0_I0+2+0+0+1], v91, a[28:31]
 // Cr += -Ai*Bi
v_mfma_f32_16x16x4_f32 a[124+0:127+0], v[vgprValuB_X0_I0+2+0+0+1], v[vgprValuA_X0_I0+2+0+0], a[124:127]
 // Ci += Ar*Bi
v_mfma_f32_16x16x4_f32 a[52+0:55+0], v[vgprValuB_X0_I0+4+0+0], v[vgprValuA_X0_I0+2+0+0], a[52:55]
 // Cr += Ar*Br
v_mfma_f32_16x16x4_f32 a[148+0:151+0], v[vgprValuB_X0_I0+4+0+0], v[vgprValuA_X0_I0+2+0+0+1], a[148:151]
 // Ci += Ai*Br
v_mfma_f32_16x16x4_f32 a[52+0:55+0], v[vgprValuB_X0_I0+4+0+0+1], v91, a[52:55]
 // Cr += -Ai*Bi
v_mfma_f32_16x16x4_f32 a[148+0:151+0], v[vgprValuB_X0_I0+4+0+0+1], v[vgprValuA_X0_I0+2+0+0], a[148:151]
 // Ci += Ar*Bi
v_mfma_f32_16x16x4_f32 a[76+0:79+0], v[vgprValuB_X0_I0+6+0+0], v[vgprValuA_X0_I0+2+0+0], a[76:79]
 // Cr += Ar*Br
v_mfma_f32_16x16x4_f32 a[172+0:175+0], v[vgprValuB_X0_I0+6+0+0], v[vgprValuA_X0_I0+2+0+0+1], a[172:175]
 // Ci += Ai*Br
v_mfma_f32_16x16x4_f32 a[76+0:79+0], v[vgprValuB_X0_I0+6+0+0+1], v91, a[76:79]
 // Cr += -Ai*Bi
v_mfma_f32_16x16x4_f32 a[172+0:175+0], v[vgprValuB_X0_I0+6+0+0+1], v[vgprValuA_X0_I0+2+0+0], a[172:175]
 // Ci += Ar*Bi
v_add_f32 v91, -v[vgprValuA_X0_I0+4+0+0+1], 0      // Ai=-Ai
v_mfma_f32_16x16x4_f32 a[8+0:11+0], v[vgprValuB_X0_I0+0+0+0], v[vgprValuA_X0_I0+4+0+0], a[8:11]
 // Cr += Ar*Br
v_mfma_f32_16x16x4_f32 a[104+0:107+0], v[vgprValuB_X0_I0+0+0+0], v[vgprValuA_X0_I0+4+0+0+1], a[104:107]
 // Ci += Ai*Br
v_mfma_f32_16x16x4_f32 a[8+0:11+0], v[vgprValuB_X0_I0+0+0+0+1], v91, a[8:11]
 // Cr += -Ai*Bi
v_mfma_f32_16x16x4_f32 a[104+0:107+0], v[vgprValuB_X0_I0+0+0+0+1], v[vgprValuA_X0_I0+4+0+0], a[104:107]
 // Ci += Ar*Bi
v_mfma_f32_16x16x4_f32 a[32+0:35+0], v[vgprValuB_X0_I0+2+0+0], v[vgprValuA_X0_I0+4+0+0], a[32:35]
 // Cr += Ar*Br
v_mfma_f32_16x16x4_f32 a[128+0:131+0], v[vgprValuB_X0_I0+2+0+0], v[vgprValuA_X0_I0+4+0+0+1], a[128:131]
 // Ci += Ai*Br
v_mfma_f32_16x16x4_f32 a[32+0:35+0], v[vgprValuB_X0_I0+2+0+0+1], v91, a[32:35]
 // Cr += -Ai*Bi
v_mfma_f32_16x16x4_f32 a[128+0:131+0], v[vgprValuB_X0_I0+2+0+0+1], v[vgprValuA_X0_I0+4+0+0], a[128:131]
 // Ci += Ar*Bi
v_mfma_f32_16x16x4_f32 a[56+0:59+0], v[vgprValuB_X0_I0+4+0+0], v[vgprValuA_X0_I0+4+0+0], a[56:59]
 // Cr += Ar*Br
v_mfma_f32_16x16x4_f32 a[152+0:155+0], v[vgprValuB_X0_I0+4+0+0], v[vgprValuA_X0_I0+4+0+0+1], a[152:155]
 // Ci += Ai*Br
v_mfma_f32_16x16x4_f32 a[56+0:59+0], v[vgprValuB_X0_I0+4+0+0+1], v91, a[56:59]
 // Cr += -Ai*Bi
v_mfma_f32_16x16x4_f32 a[152+0:155+0], v[vgprValuB_X0_I0+4+0+0+1], v[vgprValuA_X0_I0+4+0+0], a[152:155]
 // Ci += Ar*Bi
v_mfma_f32_16x16x4_f32 a[80+0:83+0], v[vgprValuB_X0_I0+6+0+0], v[vgprValuA_X0_I0+4+0+0], a[80:83]
 // Cr += Ar*Br
v_mfma_f32_16x16x4_f32 a[176+0:179+0], v[vgprValuB_X0_I0+6+0+0], v[vgprValuA_X0_I0+4+0+0+1], a[176:179]
 // Ci += Ai*Br
v_mfma_f32_16x16x4_f32 a[80+0:83+0], v[vgprValuB_X0_I0+6+0+0+1], v91, a[80:83]
 // Cr += -Ai*Bi
v_mfma_f32_16x16x4_f32 a[176+0:179+0], v[vgprValuB_X0_I0+6+0+0+1], v[vgprValuA_X0_I0+4+0+0], a[176:179]
 // Ci += Ar*Bi
v_add_f32 v91, -v[vgprValuA_X0_I0+6+0+0+1], 0      // Ai=-Ai
v_mfma_f32_16x16x4_f32 a[12+0:15+0], v[vgprValuB_X0_I0+0+0+0], v[vgprValuA_X0_I0+6+0+0], a[12:15]
 // Cr += Ar*Br
v_mfma_f32_16x16x4_f32 a[108+0:111+0], v[vgprValuB_X0_I0+0+0+0], v[vgprValuA_X0_I0+6+0+0+1], a[108:111]
 // Ci += Ai*Br
v_mfma_f32_16x16x4_f32 a[12+0:15+0], v[vgprValuB_X0_I0+0+0+0+1], v91, a[12:15]
 // Cr += -Ai*Bi
v_mfma_f32_16x16x4_f32 a[108+0:111+0], v[vgprValuB_X0_I0+0+0+0+1], v[vgprValuA_X0_I0+6+0+0], a[108:111]
 // Ci += Ar*Bi
v_mfma_f32_16x16x4_f32 a[36+0:39+0], v[vgprValuB_X0_I0+2+0+0], v[vgprValuA_X0_I0+6+0+0], a[36:39]
 // Cr += Ar*Br
v_mfma_f32_16x16x4_f32 a[132+0:135+0], v[vgprValuB_X0_I0+2+0+0], v[vgprValuA_X0_I0+6+0+0+1], a[132:135]
 // Ci += Ai*Br
v_mfma_f32_16x16x4_f32 a[36+0:39+0], v[vgprValuB_X0_I0+2+0+0+1], v91, a[36:39]
 // Cr += -Ai*Bi
v_mfma_f32_16x16x4_f32 a[132+0:135+0], v[vgprValuB_X0_I0+2+0+0+1], v[vgprValuA_X0_I0+6+0+0], a[132:135]
 // Ci += Ar*Bi
v_mfma_f32_16x16x4_f32 a[60+0:63+0], v[vgprValuB_X0_I0+4+0+0], v[vgprValuA_X0_I0+6+0+0], a[60:63]
 // Cr += Ar*Br
v_mfma_f32_16x16x4_f32 a[156+0:159+0], v[vgprValuB_X0_I0+4+0+0], v[vgprValuA_X0_I0+6+0+0+1], a[156:159]
 // Ci += Ai*Br
v_mfma_f32_16x16x4_f32 a[60+0:63+0], v[vgprValuB_X0_I0+4+0+0+1], v91, a[60:63]
 // Cr += -Ai*Bi
v_mfma_f32_16x16x4_f32 a[156+0:159+0], v[vgprValuB_X0_I0+4+0+0+1], v[vgprValuA_X0_I0+6+0+0], a[156:159]
 // Ci += Ar*Bi
v_mfma_f32_16x16x4_f32 a[84+0:87+0], v[vgprValuB_X0_I0+6+0+0], v[vgprValuA_X0_I0+6+0+0], a[84:87]
 // Cr += Ar*Br
v_mfma_f32_16x16x4_f32 a[180+0:183+0], v[vgprValuB_X0_I0+6+0+0], v[vgprValuA_X0_I0+6+0+0+1], a[180:183]
 // Ci += Ai*Br
v_mfma_f32_16x16x4_f32 a[84+0:87+0], v[vgprValuB_X0_I0+6+0+0+1], v91, a[84:87]
 // Cr += -Ai*Bi
v_mfma_f32_16x16x4_f32 a[180+0:183+0], v[vgprValuB_X0_I0+6+0+0+1], v[vgprValuA_X0_I0+6+0+0], a[180:183]
 // Ci += Ar*Bi
v_add_f32 v91, -v[vgprValuA_X0_I0+8+0+0+1], 0      // Ai=-Ai
v_mfma_f32_16x16x4_f32 a[16+0:19+0], v[vgprValuB_X0_I0+0+0+0], v[vgprValuA_X0_I0+8+0+0], a[16:19]
 // Cr += Ar*Br
v_mfma_f32_16x16x4_f32 a[112+0:115+0], v[vgprValuB_X0_I0+0+0+0], v[vgprValuA_X0_I0+8+0+0+1], a[112:115]
 // Ci += Ai*Br
v_mfma_f32_16x16x4_f32 a[16+0:19+0], v[vgprValuB_X0_I0+0+0+0+1], v91, a[16:19]
 // Cr += -Ai*Bi
v_mfma_f32_16x16x4_f32 a[112+0:115+0], v[vgprValuB_X0_I0+0+0+0+1], v[vgprValuA_X0_I0+8+0+0], a[112:115]
 // Ci += Ar*Bi
v_mfma_f32_16x16x4_f32 a[40+0:43+0], v[vgprValuB_X0_I0+2+0+0], v[vgprValuA_X0_I0+8+0+0], a[40:43]
 // Cr += Ar*Br
v_mfma_f32_16x16x4_f32 a[136+0:139+0], v[vgprValuB_X0_I0+2+0+0], v[vgprValuA_X0_I0+8+0+0+1], a[136:139]
 // Ci += Ai*Br
v_mfma_f32_16x16x4_f32 a[40+0:43+0], v[vgprValuB_X0_I0+2+0+0+1], v91, a[40:43]
 // Cr += -Ai*Bi
v_mfma_f32_16x16x4_f32 a[136+0:139+0], v[vgprValuB_X0_I0+2+0+0+1], v[vgprValuA_X0_I0+8+0+0], a[136:139]
 // Ci += Ar*Bi
v_mfma_f32_16x16x4_f32 a[64+0:67+0], v[vgprValuB_X0_I0+4+0+0], v[vgprValuA_X0_I0+8+0+0], a[64:67]
 // Cr += Ar*Br
v_mfma_f32_16x16x4_f32 a[160+0:163+0], v[vgprValuB_X0_I0+4+0+0], v[vgprValuA_X0_I0+8+0+0+1], a[160:163]
 // Ci += Ai*Br
v_mfma_f32_16x16x4_f32 a[64+0:67+0], v[vgprValuB_X0_I0+4+0+0+1], v91, a[64:67]
 // Cr += -Ai*Bi
v_mfma_f32_16x16x4_f32 a[160+0:163+0], v[vgprValuB_X0_I0+4+0+0+1], v[vgprValuA_X0_I0+8+0+0], a[160:163]
 // Ci += Ar*Bi
v_mfma_f32_16x16x4_f32 a[88+0:91+0], v[vgprValuB_X0_I0+6+0+0], v[vgprValuA_X0_I0+8+0+0], a[88:91]
 // Cr += Ar*Br
v_mfma_f32_16x16x4_f32 a[184+0:187+0], v[vgprValuB_X0_I0+6+0+0], v[vgprValuA_X0_I0+8+0+0+1], a[184:187]
 // Ci += Ai*Br
v_mfma_f32_16x16x4_f32 a[88+0:91+0], v[vgprValuB_X0_I0+6+0+0+1], v91, a[88:91]
 // Cr += -Ai*Bi
v_mfma_f32_16x16x4_f32 a[184+0:187+0], v[vgprValuB_X0_I0+6+0+0+1], v[vgprValuA_X0_I0+8+0+0], a[184:187]
 // Ci += Ar*Bi
v_add_f32 v91, -v[vgprValuA_X0_I0+10+0+0+1], 0     // Ai=-Ai
v_mfma_f32_16x16x4_f32 a[20+0:23+0], v[vgprValuB_X0_I0+0+0+0], v[vgprValuA_X0_I0+10+0+0], a[20:23]
 // Cr += Ar*Br
v_mfma_f32_16x16x4_f32 a[116+0:119+0], v[vgprValuB_X0_I0+0+0+0], v[vgprValuA_X0_I0+10+0+0+1], a[116:119]
 // Ci += Ai*Br
v_mfma_f32_16x16x4_f32 a[20+0:23+0], v[vgprValuB_X0_I0+0+0+0+1], v91, a[20:23]
 // Cr += -Ai*Bi
v_mfma_f32_16x16x4_f32 a[116+0:119+0], v[vgprValuB_X0_I0+0+0+0+1], v[vgprValuA_X0_I0+10+0+0], a[116:119]
 // Ci += Ar*Bi
v_mfma_f32_16x16x4_f32 a[44+0:47+0], v[vgprValuB_X0_I0+2+0+0], v[vgprValuA_X0_I0+10+0+0], a[44:47]
 // Cr += Ar*Br
v_mfma_f32_16x16x4_f32 a[140+0:143+0], v[vgprValuB_X0_I0+2+0+0], v[vgprValuA_X0_I0+10+0+0+1], a[140:143]
 // Ci += Ai*Br
v_mfma_f32_16x16x4_f32 a[44+0:47+0], v[vgprValuB_X0_I0+2+0+0+1], v91, a[44:47]
 // Cr += -Ai*Bi
v_mfma_f32_16x16x4_f32 a[140+0:143+0], v[vgprValuB_X0_I0+2+0+0+1], v[vgprValuA_X0_I0+10+0+0], a[140:143]
 // Ci += Ar*Bi
	;; [unrolled: 8-line block ×4, first 2 shown]


/* closeLoop loopL finalLoop=0 tailLoop=1 */
s_sub_i32 s[sgprLoopCounterL], s[sgprLoopCounterL], 0x4 // dec counterL (tailLoop)
s_add_u32 s[sgprOrigLoopCounter], s[sgprOrigLoopCounter], 0x4 // inc counterL
s_cmp_le_i32 s[sgprLoopCounterL], 0x0              // counterL<=0
s_cbranch_scc1 TailLoopEndL_7                      // exit LoopL


/* tail loop unroll iter 1 */


/* local read a */

_ds_load_b64 v[vgprValuA_X1_I0+0:vgprValuA_X1_I0+0+1], v[vgprLocalReadAddrA] offset:0 // L -> Reg lro=0 swapByteOffset=0 ti=32 vIdx=0 rIdx=0 oIdx=0 buffer=1 iui=0
_ds_load_b64 v[vgprValuA_X1_I0+2:vgprValuA_X1_I0+2+1], v[vgprLocalReadAddrA] offset:8 // L -> Reg lro=0 swapByteOffset=0 ti=32 vIdx=0 rIdx=0 oIdx=0 buffer=1 iui=0
	;; [unrolled: 1-line block ×6, first 2 shown]


/* local read b */

_ds_load_b64 v[vgprValuB_X1_I0+0:vgprValuB_X1_I0+0+1], v[vgprLocalReadAddrB] offset:0 // L -> Reg lro=0 swapByteOffset=0 ti=64 vIdx=0 rIdx=0 oIdx=0 buffer=1 iui=0
_ds_load_b64 v[vgprValuB_X1_I0+2:vgprValuB_X1_I0+2+1], v[vgprLocalReadAddrB] offset:8704 // L -> Reg lro=0 swapByteOffset=0 ti=64 vIdx=1 rIdx=0 oIdx=0 buffer=1 iui=0
	;; [unrolled: 1-line block ×4, first 2 shown]


/* local read inc a */

s_mov_b32 s10, 0xc00                               // inc
_v_add_co_u32 v[vgprLocalReadAddrA], vcc, s10, v[vgprLocalReadAddrA] // lrA += 3072 (LSU*(MT+PAD)*bpe)


/* local read inc b */

s_mov_b32 s10, 0x20                                // inc
_v_add_co_u32 v[vgprLocalReadAddrB], vcc, s10, v[vgprLocalReadAddrB] // lrB += 32 (LSU*bpe)

s_waitcnt lgkmcnt(0)                               // lgkmcnt=0 vmcnt=-14wait for local read



/* tail loop mfma iter 1: numReadsIterCoalescedA=1, numReadsIterCoalescedB=1 */
v_and_b32 v91, 63, v[vgprSerial]                   // v91 = v[vgprSerial] % 64
v_lshrrev_b32 v91, 4, v91                          // v91 = v91 / 16
                                                   // v91 = v91 * 1 (multiplier is 1, do nothing)
v_cmp_ge_i32 s[74:75], v91, s[sgprLoopCounterL]    // check K index >= Size L
v_cndmask_b32 v[vgprValuB_X1_I0+0+0+0+0], v[vgprValuB_X1_I0+0+0+0+0], 0x0, s[74:75] // set 0 if K_idx >= sizeL
v_cndmask_b32 v[vgprValuB_X1_I0+2+0+0+0], v[vgprValuB_X1_I0+2+0+0+0], 0x0, s[74:75] // set 0 if K_idx >= sizeL
	;; [unrolled: 1-line block ×8, first 2 shown]
s_nop 1
v_add_f32 v91, -v[vgprValuA_X1_I0+0+0+0+1], 0      // Ai=-Ai
v_mfma_f32_16x16x4_f32 a[0+0:3+0], v[vgprValuB_X1_I0+0+0+0], v[vgprValuA_X1_I0+0+0+0], a[0:3]
 // Cr += Ar*Br
v_mfma_f32_16x16x4_f32 a[96+0:99+0], v[vgprValuB_X1_I0+0+0+0], v[vgprValuA_X1_I0+0+0+0+1], a[96:99]
 // Ci += Ai*Br
v_mfma_f32_16x16x4_f32 a[0+0:3+0], v[vgprValuB_X1_I0+0+0+0+1], v91, a[0:3]
 // Cr += -Ai*Bi
v_mfma_f32_16x16x4_f32 a[96+0:99+0], v[vgprValuB_X1_I0+0+0+0+1], v[vgprValuA_X1_I0+0+0+0], a[96:99]
 // Ci += Ar*Bi
v_mfma_f32_16x16x4_f32 a[24+0:27+0], v[vgprValuB_X1_I0+2+0+0], v[vgprValuA_X1_I0+0+0+0], a[24:27]
 // Cr += Ar*Br
v_mfma_f32_16x16x4_f32 a[120+0:123+0], v[vgprValuB_X1_I0+2+0+0], v[vgprValuA_X1_I0+0+0+0+1], a[120:123]
 // Ci += Ai*Br
v_mfma_f32_16x16x4_f32 a[24+0:27+0], v[vgprValuB_X1_I0+2+0+0+1], v91, a[24:27]
 // Cr += -Ai*Bi
v_mfma_f32_16x16x4_f32 a[120+0:123+0], v[vgprValuB_X1_I0+2+0+0+1], v[vgprValuA_X1_I0+0+0+0], a[120:123]
 // Ci += Ar*Bi
v_mfma_f32_16x16x4_f32 a[48+0:51+0], v[vgprValuB_X1_I0+4+0+0], v[vgprValuA_X1_I0+0+0+0], a[48:51]
 // Cr += Ar*Br
v_mfma_f32_16x16x4_f32 a[144+0:147+0], v[vgprValuB_X1_I0+4+0+0], v[vgprValuA_X1_I0+0+0+0+1], a[144:147]
 // Ci += Ai*Br
v_mfma_f32_16x16x4_f32 a[48+0:51+0], v[vgprValuB_X1_I0+4+0+0+1], v91, a[48:51]
 // Cr += -Ai*Bi
v_mfma_f32_16x16x4_f32 a[144+0:147+0], v[vgprValuB_X1_I0+4+0+0+1], v[vgprValuA_X1_I0+0+0+0], a[144:147]
 // Ci += Ar*Bi
v_mfma_f32_16x16x4_f32 a[72+0:75+0], v[vgprValuB_X1_I0+6+0+0], v[vgprValuA_X1_I0+0+0+0], a[72:75]
 // Cr += Ar*Br
v_mfma_f32_16x16x4_f32 a[168+0:171+0], v[vgprValuB_X1_I0+6+0+0], v[vgprValuA_X1_I0+0+0+0+1], a[168:171]
 // Ci += Ai*Br
v_mfma_f32_16x16x4_f32 a[72+0:75+0], v[vgprValuB_X1_I0+6+0+0+1], v91, a[72:75]
 // Cr += -Ai*Bi
v_mfma_f32_16x16x4_f32 a[168+0:171+0], v[vgprValuB_X1_I0+6+0+0+1], v[vgprValuA_X1_I0+0+0+0], a[168:171]
 // Ci += Ar*Bi
v_add_f32 v91, -v[vgprValuA_X1_I0+2+0+0+1], 0      // Ai=-Ai
v_mfma_f32_16x16x4_f32 a[4+0:7+0], v[vgprValuB_X1_I0+0+0+0], v[vgprValuA_X1_I0+2+0+0], a[4:7]
 // Cr += Ar*Br
v_mfma_f32_16x16x4_f32 a[100+0:103+0], v[vgprValuB_X1_I0+0+0+0], v[vgprValuA_X1_I0+2+0+0+1], a[100:103]
 // Ci += Ai*Br
v_mfma_f32_16x16x4_f32 a[4+0:7+0], v[vgprValuB_X1_I0+0+0+0+1], v91, a[4:7]
 // Cr += -Ai*Bi
v_mfma_f32_16x16x4_f32 a[100+0:103+0], v[vgprValuB_X1_I0+0+0+0+1], v[vgprValuA_X1_I0+2+0+0], a[100:103]
 // Ci += Ar*Bi
v_mfma_f32_16x16x4_f32 a[28+0:31+0], v[vgprValuB_X1_I0+2+0+0], v[vgprValuA_X1_I0+2+0+0], a[28:31]
 // Cr += Ar*Br
v_mfma_f32_16x16x4_f32 a[124+0:127+0], v[vgprValuB_X1_I0+2+0+0], v[vgprValuA_X1_I0+2+0+0+1], a[124:127]
 // Ci += Ai*Br
v_mfma_f32_16x16x4_f32 a[28+0:31+0], v[vgprValuB_X1_I0+2+0+0+1], v91, a[28:31]
 // Cr += -Ai*Bi
v_mfma_f32_16x16x4_f32 a[124+0:127+0], v[vgprValuB_X1_I0+2+0+0+1], v[vgprValuA_X1_I0+2+0+0], a[124:127]
 // Ci += Ar*Bi
v_mfma_f32_16x16x4_f32 a[52+0:55+0], v[vgprValuB_X1_I0+4+0+0], v[vgprValuA_X1_I0+2+0+0], a[52:55]
 // Cr += Ar*Br
v_mfma_f32_16x16x4_f32 a[148+0:151+0], v[vgprValuB_X1_I0+4+0+0], v[vgprValuA_X1_I0+2+0+0+1], a[148:151]
 // Ci += Ai*Br
v_mfma_f32_16x16x4_f32 a[52+0:55+0], v[vgprValuB_X1_I0+4+0+0+1], v91, a[52:55]
 // Cr += -Ai*Bi
v_mfma_f32_16x16x4_f32 a[148+0:151+0], v[vgprValuB_X1_I0+4+0+0+1], v[vgprValuA_X1_I0+2+0+0], a[148:151]
 // Ci += Ar*Bi
v_mfma_f32_16x16x4_f32 a[76+0:79+0], v[vgprValuB_X1_I0+6+0+0], v[vgprValuA_X1_I0+2+0+0], a[76:79]
 // Cr += Ar*Br
v_mfma_f32_16x16x4_f32 a[172+0:175+0], v[vgprValuB_X1_I0+6+0+0], v[vgprValuA_X1_I0+2+0+0+1], a[172:175]
 // Ci += Ai*Br
v_mfma_f32_16x16x4_f32 a[76+0:79+0], v[vgprValuB_X1_I0+6+0+0+1], v91, a[76:79]
 // Cr += -Ai*Bi
v_mfma_f32_16x16x4_f32 a[172+0:175+0], v[vgprValuB_X1_I0+6+0+0+1], v[vgprValuA_X1_I0+2+0+0], a[172:175]
 // Ci += Ar*Bi
	;; [unrolled: 33-line block ×5, first 2 shown]
v_add_f32 v91, -v[vgprValuA_X1_I0+10+0+0+1], 0     // Ai=-Ai
v_mfma_f32_16x16x4_f32 a[20+0:23+0], v[vgprValuB_X1_I0+0+0+0], v[vgprValuA_X1_I0+10+0+0], a[20:23]
 // Cr += Ar*Br
v_mfma_f32_16x16x4_f32 a[116+0:119+0], v[vgprValuB_X1_I0+0+0+0], v[vgprValuA_X1_I0+10+0+0+1], a[116:119]
 // Ci += Ai*Br
v_mfma_f32_16x16x4_f32 a[20+0:23+0], v[vgprValuB_X1_I0+0+0+0+1], v91, a[20:23]
 // Cr += -Ai*Bi
v_mfma_f32_16x16x4_f32 a[116+0:119+0], v[vgprValuB_X1_I0+0+0+0+1], v[vgprValuA_X1_I0+10+0+0], a[116:119]
 // Ci += Ar*Bi
v_mfma_f32_16x16x4_f32 a[44+0:47+0], v[vgprValuB_X1_I0+2+0+0], v[vgprValuA_X1_I0+10+0+0], a[44:47]
 // Cr += Ar*Br
v_mfma_f32_16x16x4_f32 a[140+0:143+0], v[vgprValuB_X1_I0+2+0+0], v[vgprValuA_X1_I0+10+0+0+1], a[140:143]
 // Ci += Ai*Br
v_mfma_f32_16x16x4_f32 a[44+0:47+0], v[vgprValuB_X1_I0+2+0+0+1], v91, a[44:47]
 // Cr += -Ai*Bi
v_mfma_f32_16x16x4_f32 a[140+0:143+0], v[vgprValuB_X1_I0+2+0+0+1], v[vgprValuA_X1_I0+10+0+0], a[140:143]
 // Ci += Ar*Bi
	;; [unrolled: 8-line block ×4, first 2 shown]


/* closeLoop loopL finalLoop=0 tailLoop=1 */
s_sub_i32 s[sgprLoopCounterL], s[sgprLoopCounterL], 0x4 // dec counterL (tailLoop)
s_add_u32 s[sgprOrigLoopCounter], s[sgprOrigLoopCounter], 0x4 // inc counterL
s_cmp_le_i32 s[sgprLoopCounterL], 0x0              // counterL<=0
s_cbranch_scc1 TailLoopEndL_7                      // exit LoopL


/* tail loop unroll iter 2 */


/* local read a */

_ds_load_b64 v[vgprValuA_X0_I0+0:vgprValuA_X0_I0+0+1], v[vgprLocalReadAddrA] offset:0 // L -> Reg lro=0 swapByteOffset=0 ti=32 vIdx=0 rIdx=0 oIdx=0 buffer=0 iui=0
_ds_load_b64 v[vgprValuA_X0_I0+2:vgprValuA_X0_I0+2+1], v[vgprLocalReadAddrA] offset:8 // L -> Reg lro=0 swapByteOffset=0 ti=32 vIdx=0 rIdx=0 oIdx=0 buffer=0 iui=0
	;; [unrolled: 1-line block ×6, first 2 shown]


/* local read b */

_ds_load_b64 v[vgprValuB_X0_I0+0:vgprValuB_X0_I0+0+1], v[vgprLocalReadAddrB] offset:0 // L -> Reg lro=0 swapByteOffset=0 ti=64 vIdx=0 rIdx=0 oIdx=0 buffer=0 iui=0
_ds_load_b64 v[vgprValuB_X0_I0+2:vgprValuB_X0_I0+2+1], v[vgprLocalReadAddrB] offset:8704 // L -> Reg lro=0 swapByteOffset=0 ti=64 vIdx=1 rIdx=0 oIdx=0 buffer=0 iui=0
	;; [unrolled: 1-line block ×4, first 2 shown]


/* local read inc a */

s_mov_b32 s10, 0xc00                               // inc
_v_add_co_u32 v[vgprLocalReadAddrA], vcc, s10, v[vgprLocalReadAddrA] // lrA += 3072 (LSU*(MT+PAD)*bpe)


/* local read inc b */

s_mov_b32 s10, 0x20                                // inc
_v_add_co_u32 v[vgprLocalReadAddrB], vcc, s10, v[vgprLocalReadAddrB] // lrB += 32 (LSU*bpe)

s_waitcnt lgkmcnt(0)                               // lgkmcnt=0 vmcnt=-14wait for local read


	;; [unrolled: 1-line block ×3, first 2 shown]
/* tail loop mfma iter 2: numReadsIterCoalescedA=1, numReadsIterCoalescedB=1 */
v_and_b32 v91, 63, v[vgprSerial]                   // v91 = v[vgprSerial] % 64
v_lshrrev_b32 v91, 4, v91                          // v91 = v91 / 16
                                                   // v91 = v91 * 1 (multiplier is 1, do nothing)
v_cmp_ge_i32 s[74:75], v91, s[sgprLoopCounterL]    // check K index >= Size L
v_cndmask_b32 v[vgprValuB_X0_I0+0+0+0+0], v[vgprValuB_X0_I0+0+0+0+0], 0x0, s[74:75] // set 0 if K_idx >= sizeL
v_cndmask_b32 v[vgprValuB_X0_I0+2+0+0+0], v[vgprValuB_X0_I0+2+0+0+0], 0x0, s[74:75] // set 0 if K_idx >= sizeL
	;; [unrolled: 1-line block ×8, first 2 shown]
s_nop 1
v_add_f32 v91, -v[vgprValuA_X0_I0+0+0+0+1], 0      // Ai=-Ai
v_mfma_f32_16x16x4_f32 a[0+0:3+0], v[vgprValuB_X0_I0+0+0+0], v[vgprValuA_X0_I0+0+0+0], a[0:3]
 // Cr += Ar*Br
v_mfma_f32_16x16x4_f32 a[96+0:99+0], v[vgprValuB_X0_I0+0+0+0], v[vgprValuA_X0_I0+0+0+0+1], a[96:99]
 // Ci += Ai*Br
v_mfma_f32_16x16x4_f32 a[0+0:3+0], v[vgprValuB_X0_I0+0+0+0+1], v91, a[0:3]
 // Cr += -Ai*Bi
v_mfma_f32_16x16x4_f32 a[96+0:99+0], v[vgprValuB_X0_I0+0+0+0+1], v[vgprValuA_X0_I0+0+0+0], a[96:99]
 // Ci += Ar*Bi
v_mfma_f32_16x16x4_f32 a[24+0:27+0], v[vgprValuB_X0_I0+2+0+0], v[vgprValuA_X0_I0+0+0+0], a[24:27]
 // Cr += Ar*Br
v_mfma_f32_16x16x4_f32 a[120+0:123+0], v[vgprValuB_X0_I0+2+0+0], v[vgprValuA_X0_I0+0+0+0+1], a[120:123]
 // Ci += Ai*Br
v_mfma_f32_16x16x4_f32 a[24+0:27+0], v[vgprValuB_X0_I0+2+0+0+1], v91, a[24:27]
 // Cr += -Ai*Bi
v_mfma_f32_16x16x4_f32 a[120+0:123+0], v[vgprValuB_X0_I0+2+0+0+1], v[vgprValuA_X0_I0+0+0+0], a[120:123]
 // Ci += Ar*Bi
v_mfma_f32_16x16x4_f32 a[48+0:51+0], v[vgprValuB_X0_I0+4+0+0], v[vgprValuA_X0_I0+0+0+0], a[48:51]
 // Cr += Ar*Br
v_mfma_f32_16x16x4_f32 a[144+0:147+0], v[vgprValuB_X0_I0+4+0+0], v[vgprValuA_X0_I0+0+0+0+1], a[144:147]
 // Ci += Ai*Br
v_mfma_f32_16x16x4_f32 a[48+0:51+0], v[vgprValuB_X0_I0+4+0+0+1], v91, a[48:51]
 // Cr += -Ai*Bi
v_mfma_f32_16x16x4_f32 a[144+0:147+0], v[vgprValuB_X0_I0+4+0+0+1], v[vgprValuA_X0_I0+0+0+0], a[144:147]
 // Ci += Ar*Bi
v_mfma_f32_16x16x4_f32 a[72+0:75+0], v[vgprValuB_X0_I0+6+0+0], v[vgprValuA_X0_I0+0+0+0], a[72:75]
 // Cr += Ar*Br
v_mfma_f32_16x16x4_f32 a[168+0:171+0], v[vgprValuB_X0_I0+6+0+0], v[vgprValuA_X0_I0+0+0+0+1], a[168:171]
 // Ci += Ai*Br
v_mfma_f32_16x16x4_f32 a[72+0:75+0], v[vgprValuB_X0_I0+6+0+0+1], v91, a[72:75]
 // Cr += -Ai*Bi
v_mfma_f32_16x16x4_f32 a[168+0:171+0], v[vgprValuB_X0_I0+6+0+0+1], v[vgprValuA_X0_I0+0+0+0], a[168:171]
 // Ci += Ar*Bi
v_add_f32 v91, -v[vgprValuA_X0_I0+2+0+0+1], 0      // Ai=-Ai
v_mfma_f32_16x16x4_f32 a[4+0:7+0], v[vgprValuB_X0_I0+0+0+0], v[vgprValuA_X0_I0+2+0+0], a[4:7]
 // Cr += Ar*Br
v_mfma_f32_16x16x4_f32 a[100+0:103+0], v[vgprValuB_X0_I0+0+0+0], v[vgprValuA_X0_I0+2+0+0+1], a[100:103]
 // Ci += Ai*Br
v_mfma_f32_16x16x4_f32 a[4+0:7+0], v[vgprValuB_X0_I0+0+0+0+1], v91, a[4:7]
 // Cr += -Ai*Bi
v_mfma_f32_16x16x4_f32 a[100+0:103+0], v[vgprValuB_X0_I0+0+0+0+1], v[vgprValuA_X0_I0+2+0+0], a[100:103]
 // Ci += Ar*Bi
v_mfma_f32_16x16x4_f32 a[28+0:31+0], v[vgprValuB_X0_I0+2+0+0], v[vgprValuA_X0_I0+2+0+0], a[28:31]
 // Cr += Ar*Br
v_mfma_f32_16x16x4_f32 a[124+0:127+0], v[vgprValuB_X0_I0+2+0+0], v[vgprValuA_X0_I0+2+0+0+1], a[124:127]
 // Ci += Ai*Br
v_mfma_f32_16x16x4_f32 a[28+0:31+0], v[vgprValuB_X0_I0+2+0+0+1], v91, a[28:31]
 // Cr += -Ai*Bi
v_mfma_f32_16x16x4_f32 a[124+0:127+0], v[vgprValuB_X0_I0+2+0+0+1], v[vgprValuA_X0_I0+2+0+0], a[124:127]
 // Ci += Ar*Bi
v_mfma_f32_16x16x4_f32 a[52+0:55+0], v[vgprValuB_X0_I0+4+0+0], v[vgprValuA_X0_I0+2+0+0], a[52:55]
 // Cr += Ar*Br
v_mfma_f32_16x16x4_f32 a[148+0:151+0], v[vgprValuB_X0_I0+4+0+0], v[vgprValuA_X0_I0+2+0+0+1], a[148:151]
 // Ci += Ai*Br
v_mfma_f32_16x16x4_f32 a[52+0:55+0], v[vgprValuB_X0_I0+4+0+0+1], v91, a[52:55]
 // Cr += -Ai*Bi
v_mfma_f32_16x16x4_f32 a[148+0:151+0], v[vgprValuB_X0_I0+4+0+0+1], v[vgprValuA_X0_I0+2+0+0], a[148:151]
 // Ci += Ar*Bi
v_mfma_f32_16x16x4_f32 a[76+0:79+0], v[vgprValuB_X0_I0+6+0+0], v[vgprValuA_X0_I0+2+0+0], a[76:79]
 // Cr += Ar*Br
v_mfma_f32_16x16x4_f32 a[172+0:175+0], v[vgprValuB_X0_I0+6+0+0], v[vgprValuA_X0_I0+2+0+0+1], a[172:175]
 // Ci += Ai*Br
v_mfma_f32_16x16x4_f32 a[76+0:79+0], v[vgprValuB_X0_I0+6+0+0+1], v91, a[76:79]
 // Cr += -Ai*Bi
v_mfma_f32_16x16x4_f32 a[172+0:175+0], v[vgprValuB_X0_I0+6+0+0+1], v[vgprValuA_X0_I0+2+0+0], a[172:175]
 // Ci += Ar*Bi
	;; [unrolled: 33-line block ×5, first 2 shown]
v_add_f32 v91, -v[vgprValuA_X0_I0+10+0+0+1], 0     // Ai=-Ai
v_mfma_f32_16x16x4_f32 a[20+0:23+0], v[vgprValuB_X0_I0+0+0+0], v[vgprValuA_X0_I0+10+0+0], a[20:23]
 // Cr += Ar*Br
v_mfma_f32_16x16x4_f32 a[116+0:119+0], v[vgprValuB_X0_I0+0+0+0], v[vgprValuA_X0_I0+10+0+0+1], a[116:119]
 // Ci += Ai*Br
v_mfma_f32_16x16x4_f32 a[20+0:23+0], v[vgprValuB_X0_I0+0+0+0+1], v91, a[20:23]
 // Cr += -Ai*Bi
v_mfma_f32_16x16x4_f32 a[116+0:119+0], v[vgprValuB_X0_I0+0+0+0+1], v[vgprValuA_X0_I0+10+0+0], a[116:119]
 // Ci += Ar*Bi
v_mfma_f32_16x16x4_f32 a[44+0:47+0], v[vgprValuB_X0_I0+2+0+0], v[vgprValuA_X0_I0+10+0+0], a[44:47]
 // Cr += Ar*Br
v_mfma_f32_16x16x4_f32 a[140+0:143+0], v[vgprValuB_X0_I0+2+0+0], v[vgprValuA_X0_I0+10+0+0+1], a[140:143]
 // Ci += Ai*Br
v_mfma_f32_16x16x4_f32 a[44+0:47+0], v[vgprValuB_X0_I0+2+0+0+1], v91, a[44:47]
 // Cr += -Ai*Bi
v_mfma_f32_16x16x4_f32 a[140+0:143+0], v[vgprValuB_X0_I0+2+0+0+1], v[vgprValuA_X0_I0+10+0+0], a[140:143]
 // Ci += Ar*Bi
	;; [unrolled: 8-line block ×4, first 2 shown]


/* closeLoop loopL finalLoop=0 tailLoop=1 */
s_sub_i32 s[sgprLoopCounterL], s[sgprLoopCounterL], 0x4 // dec counterL (tailLoop)
s_add_u32 s[sgprOrigLoopCounter], s[sgprOrigLoopCounter], 0x4 // inc counterL
s_cmp_le_i32 s[sgprLoopCounterL], 0x0              // counterL<=0
s_cbranch_scc1 TailLoopEndL_7                      // exit LoopL


/* tail loop unroll iter 3 */


/* local read a */

_ds_load_b64 v[vgprValuA_X1_I0+0:vgprValuA_X1_I0+0+1], v[vgprLocalReadAddrA] offset:0 // L -> Reg lro=0 swapByteOffset=0 ti=32 vIdx=0 rIdx=0 oIdx=0 buffer=1 iui=0
_ds_load_b64 v[vgprValuA_X1_I0+2:vgprValuA_X1_I0+2+1], v[vgprLocalReadAddrA] offset:8 // L -> Reg lro=0 swapByteOffset=0 ti=32 vIdx=0 rIdx=0 oIdx=0 buffer=1 iui=0
	;; [unrolled: 1-line block ×6, first 2 shown]


/* local read b */

_ds_load_b64 v[vgprValuB_X1_I0+0:vgprValuB_X1_I0+0+1], v[vgprLocalReadAddrB] offset:0 // L -> Reg lro=0 swapByteOffset=0 ti=64 vIdx=0 rIdx=0 oIdx=0 buffer=1 iui=0
_ds_load_b64 v[vgprValuB_X1_I0+2:vgprValuB_X1_I0+2+1], v[vgprLocalReadAddrB] offset:8704 // L -> Reg lro=0 swapByteOffset=0 ti=64 vIdx=1 rIdx=0 oIdx=0 buffer=1 iui=0
	;; [unrolled: 1-line block ×4, first 2 shown]


/* local read inc a */

s_mov_b32 s10, 0xc00                               // inc
_v_add_co_u32 v[vgprLocalReadAddrA], vcc, s10, v[vgprLocalReadAddrA] // lrA += 3072 (LSU*(MT+PAD)*bpe)


/* local read inc b */

s_mov_b32 s10, 0x28                                // inc
_v_add_co_u32 v[vgprLocalReadAddrB], vcc, s10, v[vgprLocalReadAddrB] // lrB += 40 (LSU*bpe)

s_waitcnt lgkmcnt(0)                               // lgkmcnt=0 vmcnt=-14wait for local read



/* tail loop mfma iter 3: numReadsIterCoalescedA=1, numReadsIterCoalescedB=1 */
v_and_b32 v91, 63, v[vgprSerial]                   // v91 = v[vgprSerial] % 64
v_lshrrev_b32 v91, 4, v91                          // v91 = v91 / 16
                                                   // v91 = v91 * 1 (multiplier is 1, do nothing)
v_cmp_ge_i32 s[74:75], v91, s[sgprLoopCounterL]    // check K index >= Size L
v_cndmask_b32 v[vgprValuB_X1_I0+0+0+0+0], v[vgprValuB_X1_I0+0+0+0+0], 0x0, s[74:75] // set 0 if K_idx >= sizeL
v_cndmask_b32 v[vgprValuB_X1_I0+2+0+0+0], v[vgprValuB_X1_I0+2+0+0+0], 0x0, s[74:75] // set 0 if K_idx >= sizeL
	;; [unrolled: 1-line block ×8, first 2 shown]
s_nop 1
v_add_f32 v91, -v[vgprValuA_X1_I0+0+0+0+1], 0      // Ai=-Ai
v_mfma_f32_16x16x4_f32 a[0+0:3+0], v[vgprValuB_X1_I0+0+0+0], v[vgprValuA_X1_I0+0+0+0], a[0:3]
 // Cr += Ar*Br
v_mfma_f32_16x16x4_f32 a[96+0:99+0], v[vgprValuB_X1_I0+0+0+0], v[vgprValuA_X1_I0+0+0+0+1], a[96:99]
 // Ci += Ai*Br
v_mfma_f32_16x16x4_f32 a[0+0:3+0], v[vgprValuB_X1_I0+0+0+0+1], v91, a[0:3]
 // Cr += -Ai*Bi
v_mfma_f32_16x16x4_f32 a[96+0:99+0], v[vgprValuB_X1_I0+0+0+0+1], v[vgprValuA_X1_I0+0+0+0], a[96:99]
 // Ci += Ar*Bi
v_mfma_f32_16x16x4_f32 a[24+0:27+0], v[vgprValuB_X1_I0+2+0+0], v[vgprValuA_X1_I0+0+0+0], a[24:27]
 // Cr += Ar*Br
v_mfma_f32_16x16x4_f32 a[120+0:123+0], v[vgprValuB_X1_I0+2+0+0], v[vgprValuA_X1_I0+0+0+0+1], a[120:123]
 // Ci += Ai*Br
v_mfma_f32_16x16x4_f32 a[24+0:27+0], v[vgprValuB_X1_I0+2+0+0+1], v91, a[24:27]
 // Cr += -Ai*Bi
v_mfma_f32_16x16x4_f32 a[120+0:123+0], v[vgprValuB_X1_I0+2+0+0+1], v[vgprValuA_X1_I0+0+0+0], a[120:123]
 // Ci += Ar*Bi
v_mfma_f32_16x16x4_f32 a[48+0:51+0], v[vgprValuB_X1_I0+4+0+0], v[vgprValuA_X1_I0+0+0+0], a[48:51]
 // Cr += Ar*Br
v_mfma_f32_16x16x4_f32 a[144+0:147+0], v[vgprValuB_X1_I0+4+0+0], v[vgprValuA_X1_I0+0+0+0+1], a[144:147]
 // Ci += Ai*Br
v_mfma_f32_16x16x4_f32 a[48+0:51+0], v[vgprValuB_X1_I0+4+0+0+1], v91, a[48:51]
 // Cr += -Ai*Bi
v_mfma_f32_16x16x4_f32 a[144+0:147+0], v[vgprValuB_X1_I0+4+0+0+1], v[vgprValuA_X1_I0+0+0+0], a[144:147]
 // Ci += Ar*Bi
v_mfma_f32_16x16x4_f32 a[72+0:75+0], v[vgprValuB_X1_I0+6+0+0], v[vgprValuA_X1_I0+0+0+0], a[72:75]
 // Cr += Ar*Br
v_mfma_f32_16x16x4_f32 a[168+0:171+0], v[vgprValuB_X1_I0+6+0+0], v[vgprValuA_X1_I0+0+0+0+1], a[168:171]
 // Ci += Ai*Br
v_mfma_f32_16x16x4_f32 a[72+0:75+0], v[vgprValuB_X1_I0+6+0+0+1], v91, a[72:75]
 // Cr += -Ai*Bi
v_mfma_f32_16x16x4_f32 a[168+0:171+0], v[vgprValuB_X1_I0+6+0+0+1], v[vgprValuA_X1_I0+0+0+0], a[168:171]
 // Ci += Ar*Bi
v_add_f32 v91, -v[vgprValuA_X1_I0+2+0+0+1], 0      // Ai=-Ai
v_mfma_f32_16x16x4_f32 a[4+0:7+0], v[vgprValuB_X1_I0+0+0+0], v[vgprValuA_X1_I0+2+0+0], a[4:7]
 // Cr += Ar*Br
v_mfma_f32_16x16x4_f32 a[100+0:103+0], v[vgprValuB_X1_I0+0+0+0], v[vgprValuA_X1_I0+2+0+0+1], a[100:103]
 // Ci += Ai*Br
v_mfma_f32_16x16x4_f32 a[4+0:7+0], v[vgprValuB_X1_I0+0+0+0+1], v91, a[4:7]
 // Cr += -Ai*Bi
v_mfma_f32_16x16x4_f32 a[100+0:103+0], v[vgprValuB_X1_I0+0+0+0+1], v[vgprValuA_X1_I0+2+0+0], a[100:103]
 // Ci += Ar*Bi
v_mfma_f32_16x16x4_f32 a[28+0:31+0], v[vgprValuB_X1_I0+2+0+0], v[vgprValuA_X1_I0+2+0+0], a[28:31]
 // Cr += Ar*Br
v_mfma_f32_16x16x4_f32 a[124+0:127+0], v[vgprValuB_X1_I0+2+0+0], v[vgprValuA_X1_I0+2+0+0+1], a[124:127]
 // Ci += Ai*Br
v_mfma_f32_16x16x4_f32 a[28+0:31+0], v[vgprValuB_X1_I0+2+0+0+1], v91, a[28:31]
 // Cr += -Ai*Bi
v_mfma_f32_16x16x4_f32 a[124+0:127+0], v[vgprValuB_X1_I0+2+0+0+1], v[vgprValuA_X1_I0+2+0+0], a[124:127]
 // Ci += Ar*Bi
v_mfma_f32_16x16x4_f32 a[52+0:55+0], v[vgprValuB_X1_I0+4+0+0], v[vgprValuA_X1_I0+2+0+0], a[52:55]
 // Cr += Ar*Br
v_mfma_f32_16x16x4_f32 a[148+0:151+0], v[vgprValuB_X1_I0+4+0+0], v[vgprValuA_X1_I0+2+0+0+1], a[148:151]
 // Ci += Ai*Br
v_mfma_f32_16x16x4_f32 a[52+0:55+0], v[vgprValuB_X1_I0+4+0+0+1], v91, a[52:55]
 // Cr += -Ai*Bi
v_mfma_f32_16x16x4_f32 a[148+0:151+0], v[vgprValuB_X1_I0+4+0+0+1], v[vgprValuA_X1_I0+2+0+0], a[148:151]
 // Ci += Ar*Bi
v_mfma_f32_16x16x4_f32 a[76+0:79+0], v[vgprValuB_X1_I0+6+0+0], v[vgprValuA_X1_I0+2+0+0], a[76:79]
 // Cr += Ar*Br
v_mfma_f32_16x16x4_f32 a[172+0:175+0], v[vgprValuB_X1_I0+6+0+0], v[vgprValuA_X1_I0+2+0+0+1], a[172:175]
 // Ci += Ai*Br
v_mfma_f32_16x16x4_f32 a[76+0:79+0], v[vgprValuB_X1_I0+6+0+0+1], v91, a[76:79]
 // Cr += -Ai*Bi
v_mfma_f32_16x16x4_f32 a[172+0:175+0], v[vgprValuB_X1_I0+6+0+0+1], v[vgprValuA_X1_I0+2+0+0], a[172:175]
 // Ci += Ar*Bi
	;; [unrolled: 33-line block ×5, first 2 shown]
v_add_f32 v91, -v[vgprValuA_X1_I0+10+0+0+1], 0     // Ai=-Ai
v_mfma_f32_16x16x4_f32 a[20+0:23+0], v[vgprValuB_X1_I0+0+0+0], v[vgprValuA_X1_I0+10+0+0], a[20:23]
 // Cr += Ar*Br
v_mfma_f32_16x16x4_f32 a[116+0:119+0], v[vgprValuB_X1_I0+0+0+0], v[vgprValuA_X1_I0+10+0+0+1], a[116:119]
 // Ci += Ai*Br
v_mfma_f32_16x16x4_f32 a[20+0:23+0], v[vgprValuB_X1_I0+0+0+0+1], v91, a[20:23]
 // Cr += -Ai*Bi
v_mfma_f32_16x16x4_f32 a[116+0:119+0], v[vgprValuB_X1_I0+0+0+0+1], v[vgprValuA_X1_I0+10+0+0], a[116:119]
 // Ci += Ar*Bi
v_mfma_f32_16x16x4_f32 a[44+0:47+0], v[vgprValuB_X1_I0+2+0+0], v[vgprValuA_X1_I0+10+0+0], a[44:47]
 // Cr += Ar*Br
v_mfma_f32_16x16x4_f32 a[140+0:143+0], v[vgprValuB_X1_I0+2+0+0], v[vgprValuA_X1_I0+10+0+0+1], a[140:143]
 // Ci += Ai*Br
v_mfma_f32_16x16x4_f32 a[44+0:47+0], v[vgprValuB_X1_I0+2+0+0+1], v91, a[44:47]
 // Cr += -Ai*Bi
v_mfma_f32_16x16x4_f32 a[140+0:143+0], v[vgprValuB_X1_I0+2+0+0+1], v[vgprValuA_X1_I0+10+0+0], a[140:143]
 // Ci += Ar*Bi
	;; [unrolled: 8-line block ×4, first 2 shown]


/* closeLoop loopL finalLoop=1 tailLoop=1 */
s_sub_i32 s[sgprLoopCounterL], s[sgprLoopCounterL], 0x4 // dec counterL (tailLoop)
s_add_u32 s[sgprOrigLoopCounter], s[sgprOrigLoopCounter], 0x4 // inc counterL
s_cmp_le_i32 s[sgprLoopCounterL], 0x0              // counterL<=0
s_cbranch_scc0 TailLoopBeginL_6                    // restart LoopL
TailLoopEndL_7:

SkipTailLoopL_8:

Summation_End_19:
/* endSummation: add vgpr [0...88) to pool */
.set ScalarGlobalReadOffsetB, UNDEF

/* Mapping of Acc register -> C Vgpr register */


	;; [unrolled: 1-line block ×3, first 2 shown]
/* not-LocalSplitU: global write indices */

/* computeStoreVgprs */
v_lshrrev_b32 v4, 6, v[vgprSerial]                 // v4 = v[vgprSerial] / 64
v_and_b32 v1, 63, v[vgprSerial]                    // v1 = v[vgprSerial] % 64
v_lshrrev_b32 v1, 4, v1                            // v1 = v1 / 16
v_lshlrev_b32 v1, 0x2, v1                          // thread0 * continuous_output
v_lshrrev_b32 v5, 0, v4                            // v5 = v4 / 1
v_mul_lo_u32 v5, 0x10, v5                          // wave coordination offset 1
_v_add_lshl_u32 v1, v5, v1, 0                      // coordination 1 = vwb *(wave_id1 + tid1)
v_mul_lo_u32 v2, v1, s[sgprStrideC1J]              //  offset 1
v_mul_lo_u32 v3, v1, s[sgprStrideD1J]              //  offset 1
v_and_b32 v5, 0, v4                                // v5 = v4 % 1
v_and_b32 v0, 15, v[vgprSerial]                    // v0 = v[vgprSerial] % 16
_v_add_lshl_u32 v0, v5, v0, 1                      // coordination 0 = vwa *(wave_id0 + tid0)
s_mul_i32 s10, 96, s[sgprWorkGroup0]               // wgp0 * MT0
_v_add_u32 v0, s10, v0                             // coord 0 = (tid0/MI_m)*4 + waveG0*MIB_m + MT0*SG0
s_mul_i32 s10, 256, s[sgprWorkGroup1]              // wgp1 * MT1
_v_add_u32 v1, s10, v1                             // coord 1 = (tid0%MI_m) + waveG1*MIB_n + MT1*SG1


/* not-LocalSplitU: global write */

s_mov_b32 s61, 0x0                                 // STATIC_DIV: divisior=96
s_mul_i32 s60, 0x555, s[sgprSizeI]                 // tmp1 = dividend * magic hi
s_lshl_b64 s[60:61], s[60:61], 0x10                // left shift 16 bits
s_mul_i32 s59, s[sgprSizeI], 0x5556                // tmp0 = dividend * magic lo
s_add_u32 s60, s59, s60                            // add lo
s_addc_u32 s61, s61, 0x0                           // add hi
s_lshr_b64 s[60:61], s[60:61], 0x21                // tmp1 = (dividend * magic) << shift
s_mov_b32 s59, s60                                 // quotient
s_mul_i32 s60, s59, 0x60                           // quotient*divisor
s_sub_u32 s58, s[sgprSizeI], s60                   // rReg = dividend - quotient*divisor
s_add_u32 s59, -0x1, s[sgprNumWorkGroups0]         // 
s_cmp_ge_u32 s[sgprWorkGroup0], s59                // wg0 >= nwg0-1 ?
s_cselect_b32 s58, s58, 0                          // set rMT0
s_cmpk_gt_u32 s58, 0x0                             // rMT0 > 0
s_cbranch_scc1 GW_B0_E1_25                         // jump if edges required
s_and_b32 s58, 255, s[sgprSizeJ]                   // s58 = s[sgprSizeJ] % 256
s_add_u32 s59, -0x1, s[sgprNumWorkGroups1]         // 
s_cmp_ge_u32 s[sgprWorkGroup1], s59                // wg1 >= nwg1-1
s_cselect_b32 s58, s58, 0                          // set rMT1
s_cmpk_gt_u32 s58, 0x0                             // rMT1 > 0
s_cbranch_scc1 GW_B0_E1_25                         // jump if edges required
GW_B0_E0_22:

/* edge=0, allocate 2 sgpr. perBatchTmpS=2 perBatchMaskS=0 perElementMaskS=0 elementsPerBatch=4 */
/* optSingleColVgpr=1 optSharedColVgpr=0 optSGPRUsage=BufferLoad_Mask optSrdIncForRow=1 */

/******************************************/
/* Global Write Alpha Batch #0 (d1,d0,vc1,vc0) = */
/*    (0,0,0,0:vw2); (0,1,0,0:vw2); (0,2,0,0:vw2); (0,0,1,0:vw2) */
/******************************************/

/* calc coords, apply mask, and issue loads (if necessary) */
/* (d1,vc1,d0,vc0)=(0,0,0,0) */
/* (d1,vc1,d0,vc0)=(0,0,1,0) */
	;; [unrolled: 1-line block ×4, first 2 shown]
_v_add_lshl_u32 v6, v3, v0, 0x3                    // optSingleColVgpr scaleToBpe: sharedAddrVgpr <- cinRowPtr + coord0, scaled by BPE. BSHERE:coord0=0, coord0Vgpr=0
v_accvgpr_read_b32 v[vgprValuC+8], acc0 // copy acc to vreg[0]
v_accvgpr_read_b32 v[vgprValuC+9], acc96 // copy acc to vreg[1]
v_accvgpr_read_b32 v[vgprValuC+10], acc4 // copy acc to vreg[2]
v_accvgpr_read_b32 v[vgprValuC+11], acc100 // copy acc to vreg[3]
v_accvgpr_read_b32 v[vgprValuC+12], acc8 // copy acc to vreg[4]
v_accvgpr_read_b32 v[vgprValuC+13], acc104 // copy acc to vreg[5]
v_accvgpr_read_b32 v[vgprValuC+14], acc12 // copy acc to vreg[6]
v_accvgpr_read_b32 v[vgprValuC+15], acc108 // copy acc to vreg[7]
v_accvgpr_read_b32 v[vgprValuC+16], acc16 // copy acc to vreg[8]
v_accvgpr_read_b32 v[vgprValuC+17], acc112 // copy acc to vreg[9]
v_accvgpr_read_b32 v[vgprValuC+18], acc20 // copy acc to vreg[10]
v_accvgpr_read_b32 v[vgprValuC+19], acc116 // copy acc to vreg[11]
v_accvgpr_read_b32 v[vgprValuC+20], acc1 // copy acc to vreg[12]
v_accvgpr_read_b32 v[vgprValuC+21], acc97 // copy acc to vreg[13]
v_accvgpr_read_b32 v[vgprValuC+22], acc5 // copy acc to vreg[14]
v_accvgpr_read_b32 v[vgprValuC+23], acc101 // copy acc to vreg[15]
s_nop 1                                            // 2 wait states required before reading vgpr

/* rC *= alpha batchElements=[(0, 0, 0, 0), (0, 1, 0, 0), (0, 2, 0, 0), (0, 0, 1, 0)] */

/* apply mask, calc new C and issue writes */
_buffer_store_b128 v[8:11], v6, s[sgprSrdD:sgprSrdD+3], 0, offen, offset:0 // store D
_buffer_store_b128 v[12:15], v6, s[sgprSrdD:sgprSrdD+3], 0, offen, offset:256 // store D
	;; [unrolled: 1-line block ×3, first 2 shown]
s_lshl_b32  s10, s[sgprStrideD1J], 3               // incToNextRow: Scale by BPE
s_add_u32  s[sgprSrdD+0], s[sgprSrdD+0], s10       // incToNextRow: gra SRD += inc(lower)
s_addc_u32  s[sgprSrdD+1], s[sgprSrdD+1], 0        // incToNextRow: gra SRD += inc(upper)
_buffer_store_b128 v[20:23], v6, s[sgprSrdD:sgprSrdD+3], 0, offen, offset:0 // store D
s_nop 0                                            // 1 wait state required when next inst writes vgprs held by previous dwordx4 store inst
/* optSingleColVgpr=1 optSharedColVgpr=0 optSGPRUsage=BufferLoad_Mask optSrdIncForRow=1 */

/******************************************/
/* Global Write Alpha Batch #1 (d1,d0,vc1,vc0) = */
/*    (0,1,1,0:vw2); (0,2,1,0:vw2); (0,0,2,0:vw2); (0,1,2,0:vw2) */
/******************************************/

/* calc coords, apply mask, and issue loads (if necessary) */
/* (d1,vc1,d0,vc0)=(0,1,1,0) */
/* (d1,vc1,d0,vc0)=(0,1,2,0) */
	;; [unrolled: 1-line block ×4, first 2 shown]
v_accvgpr_read_b32 v[vgprValuC+8], acc9 // copy acc to vreg[16]
v_accvgpr_read_b32 v[vgprValuC+9], acc105 // copy acc to vreg[17]
v_accvgpr_read_b32 v[vgprValuC+10], acc13 // copy acc to vreg[18]
v_accvgpr_read_b32 v[vgprValuC+11], acc109 // copy acc to vreg[19]
v_accvgpr_read_b32 v[vgprValuC+12], acc17 // copy acc to vreg[20]
v_accvgpr_read_b32 v[vgprValuC+13], acc113 // copy acc to vreg[21]
v_accvgpr_read_b32 v[vgprValuC+14], acc21 // copy acc to vreg[22]
v_accvgpr_read_b32 v[vgprValuC+15], acc117 // copy acc to vreg[23]
v_accvgpr_read_b32 v[vgprValuC+16], acc2 // copy acc to vreg[24]
v_accvgpr_read_b32 v[vgprValuC+17], acc98 // copy acc to vreg[25]
v_accvgpr_read_b32 v[vgprValuC+18], acc6 // copy acc to vreg[26]
v_accvgpr_read_b32 v[vgprValuC+19], acc102 // copy acc to vreg[27]
v_accvgpr_read_b32 v[vgprValuC+20], acc10 // copy acc to vreg[28]
v_accvgpr_read_b32 v[vgprValuC+21], acc106 // copy acc to vreg[29]
v_accvgpr_read_b32 v[vgprValuC+22], acc14 // copy acc to vreg[30]
v_accvgpr_read_b32 v[vgprValuC+23], acc110 // copy acc to vreg[31]
s_nop 1                                            // 2 wait states required before reading vgpr

/* rC *= alpha batchElements=[(0, 1, 1, 0), (0, 2, 1, 0), (0, 0, 2, 0), (0, 1, 2, 0)] */

/* apply mask, calc new C and issue writes */
_buffer_store_b128 v[8:11], v6, s[sgprSrdD:sgprSrdD+3], 0, offen, offset:256 // store D
_buffer_store_b128 v[12:15], v6, s[sgprSrdD:sgprSrdD+3], 0, offen, offset:512 // store D
s_lshl_b32  s10, s[sgprStrideD1J], 3               // incToNextRow: Scale by BPE
s_add_u32  s[sgprSrdD+0], s[sgprSrdD+0], s10       // incToNextRow: gra SRD += inc(lower)
s_addc_u32  s[sgprSrdD+1], s[sgprSrdD+1], 0        // incToNextRow: gra SRD += inc(upper)
_buffer_store_b128 v[16:19], v6, s[sgprSrdD:sgprSrdD+3], 0, offen, offset:0 // store D
_buffer_store_b128 v[20:23], v6, s[sgprSrdD:sgprSrdD+3], 0, offen, offset:256 // store D
s_nop 0                                            // 1 wait state required when next inst writes vgprs held by previous dwordx4 store inst
/* optSingleColVgpr=1 optSharedColVgpr=0 optSGPRUsage=BufferLoad_Mask optSrdIncForRow=1 */

/******************************************/
/* Global Write Alpha Batch #2 (d1,d0,vc1,vc0) = */
/*    (0,2,2,0:vw2); (0,0,3,0:vw2); (0,1,3,0:vw2); (0,2,3,0:vw2) */
/******************************************/

/* calc coords, apply mask, and issue loads (if necessary) */
/* (d1,vc1,d0,vc0)=(0,2,2,0) */
/* (d1,vc1,d0,vc0)=(0,3,0,0) */
	;; [unrolled: 1-line block ×4, first 2 shown]
v_accvgpr_read_b32 v[vgprValuC+8], acc18 // copy acc to vreg[32]
v_accvgpr_read_b32 v[vgprValuC+9], acc114 // copy acc to vreg[33]
v_accvgpr_read_b32 v[vgprValuC+10], acc22 // copy acc to vreg[34]
v_accvgpr_read_b32 v[vgprValuC+11], acc118 // copy acc to vreg[35]
v_accvgpr_read_b32 v[vgprValuC+12], acc3 // copy acc to vreg[36]
v_accvgpr_read_b32 v[vgprValuC+13], acc99 // copy acc to vreg[37]
v_accvgpr_read_b32 v[vgprValuC+14], acc7 // copy acc to vreg[38]
v_accvgpr_read_b32 v[vgprValuC+15], acc103 // copy acc to vreg[39]
v_accvgpr_read_b32 v[vgprValuC+16], acc11 // copy acc to vreg[40]
v_accvgpr_read_b32 v[vgprValuC+17], acc107 // copy acc to vreg[41]
v_accvgpr_read_b32 v[vgprValuC+18], acc15 // copy acc to vreg[42]
v_accvgpr_read_b32 v[vgprValuC+19], acc111 // copy acc to vreg[43]
v_accvgpr_read_b32 v[vgprValuC+20], acc19 // copy acc to vreg[44]
v_accvgpr_read_b32 v[vgprValuC+21], acc115 // copy acc to vreg[45]
v_accvgpr_read_b32 v[vgprValuC+22], acc23 // copy acc to vreg[46]
v_accvgpr_read_b32 v[vgprValuC+23], acc119 // copy acc to vreg[47]
s_nop 1                                            // 2 wait states required before reading vgpr

/* rC *= alpha batchElements=[(0, 2, 2, 0), (0, 0, 3, 0), (0, 1, 3, 0), (0, 2, 3, 0)] */

/* apply mask, calc new C and issue writes */
_buffer_store_b128 v[8:11], v6, s[sgprSrdD:sgprSrdD+3], 0, offen, offset:512 // store D
s_lshl_b32  s10, s[sgprStrideD1J], 3               // incToNextRow: Scale by BPE
s_add_u32  s[sgprSrdD+0], s[sgprSrdD+0], s10       // incToNextRow: gra SRD += inc(lower)
s_addc_u32  s[sgprSrdD+1], s[sgprSrdD+1], 0        // incToNextRow: gra SRD += inc(upper)
_buffer_store_b128 v[12:15], v6, s[sgprSrdD:sgprSrdD+3], 0, offen, offset:0 // store D
_buffer_store_b128 v[16:19], v6, s[sgprSrdD:sgprSrdD+3], 0, offen, offset:256 // store D
	;; [unrolled: 1-line block ×3, first 2 shown]
s_nop 0                                            // 1 wait state required when next inst writes vgprs held by previous dwordx4 store inst
/* optSingleColVgpr=1 optSharedColVgpr=0 optSGPRUsage=BufferLoad_Mask optSrdIncForRow=1 */

/******************************************/
/* Global Write Alpha Batch #3 (d1,d0,vc1,vc0) = */
/*    (1,0,0,0:vw2); (1,1,0,0:vw2); (1,2,0,0:vw2); (1,0,1,0:vw2) */
/******************************************/

/* calc coords, apply mask, and issue loads (if necessary) */
/* (d1,vc1,d0,vc0)=(1,0,0,0) */
/* (d1,vc1,d0,vc0)=(1,0,1,0) */
	;; [unrolled: 1-line block ×4, first 2 shown]
v_accvgpr_read_b32 v[vgprValuC+8], acc24 // copy acc to vreg[48]
v_accvgpr_read_b32 v[vgprValuC+9], acc120 // copy acc to vreg[49]
v_accvgpr_read_b32 v[vgprValuC+10], acc28 // copy acc to vreg[50]
v_accvgpr_read_b32 v[vgprValuC+11], acc124 // copy acc to vreg[51]
v_accvgpr_read_b32 v[vgprValuC+12], acc32 // copy acc to vreg[52]
v_accvgpr_read_b32 v[vgprValuC+13], acc128 // copy acc to vreg[53]
v_accvgpr_read_b32 v[vgprValuC+14], acc36 // copy acc to vreg[54]
v_accvgpr_read_b32 v[vgprValuC+15], acc132 // copy acc to vreg[55]
v_accvgpr_read_b32 v[vgprValuC+16], acc40 // copy acc to vreg[56]
v_accvgpr_read_b32 v[vgprValuC+17], acc136 // copy acc to vreg[57]
v_accvgpr_read_b32 v[vgprValuC+18], acc44 // copy acc to vreg[58]
v_accvgpr_read_b32 v[vgprValuC+19], acc140 // copy acc to vreg[59]
v_accvgpr_read_b32 v[vgprValuC+20], acc25 // copy acc to vreg[60]
v_accvgpr_read_b32 v[vgprValuC+21], acc121 // copy acc to vreg[61]
v_accvgpr_read_b32 v[vgprValuC+22], acc29 // copy acc to vreg[62]
v_accvgpr_read_b32 v[vgprValuC+23], acc125 // copy acc to vreg[63]
s_nop 1                                            // 2 wait states required before reading vgpr

/* rC *= alpha batchElements=[(1, 0, 0, 0), (1, 1, 0, 0), (1, 2, 0, 0), (1, 0, 1, 0)] */

/* apply mask, calc new C and issue writes */
s_mul_i32 s10, s[sgprStrideD1J], 488               // scale StrideD *= numRows(61) * bpe
s_add_u32  s[sgprSrdD+0], s[sgprSrdD+0], s10       // incToNextRow: gra SRD += inc(lower)
s_addc_u32  s[sgprSrdD+1], s[sgprSrdD+1], 0        // incToNextRow: gra SRD += inc(upper)
_buffer_store_b128 v[8:11], v6, s[sgprSrdD:sgprSrdD+3], 0, offen, offset:0 // store D
_buffer_store_b128 v[12:15], v6, s[sgprSrdD:sgprSrdD+3], 0, offen, offset:256 // store D
	;; [unrolled: 1-line block ×3, first 2 shown]
s_lshl_b32  s10, s[sgprStrideD1J], 3               // incToNextRow: Scale by BPE
s_add_u32  s[sgprSrdD+0], s[sgprSrdD+0], s10       // incToNextRow: gra SRD += inc(lower)
s_addc_u32  s[sgprSrdD+1], s[sgprSrdD+1], 0        // incToNextRow: gra SRD += inc(upper)
_buffer_store_b128 v[20:23], v6, s[sgprSrdD:sgprSrdD+3], 0, offen, offset:0 // store D
s_nop 0                                            // 1 wait state required when next inst writes vgprs held by previous dwordx4 store inst
/* optSingleColVgpr=1 optSharedColVgpr=0 optSGPRUsage=BufferLoad_Mask optSrdIncForRow=1 */

/******************************************/
/* Global Write Alpha Batch #4 (d1,d0,vc1,vc0) = */
/*    (1,1,1,0:vw2); (1,2,1,0:vw2); (1,0,2,0:vw2); (1,1,2,0:vw2) */
/******************************************/

/* calc coords, apply mask, and issue loads (if necessary) */
/* (d1,vc1,d0,vc0)=(1,1,1,0) */
/* (d1,vc1,d0,vc0)=(1,1,2,0) */
	;; [unrolled: 1-line block ×4, first 2 shown]
v_accvgpr_read_b32 v[vgprValuC+8], acc33 // copy acc to vreg[64]
v_accvgpr_read_b32 v[vgprValuC+9], acc129 // copy acc to vreg[65]
v_accvgpr_read_b32 v[vgprValuC+10], acc37 // copy acc to vreg[66]
v_accvgpr_read_b32 v[vgprValuC+11], acc133 // copy acc to vreg[67]
v_accvgpr_read_b32 v[vgprValuC+12], acc41 // copy acc to vreg[68]
v_accvgpr_read_b32 v[vgprValuC+13], acc137 // copy acc to vreg[69]
v_accvgpr_read_b32 v[vgprValuC+14], acc45 // copy acc to vreg[70]
v_accvgpr_read_b32 v[vgprValuC+15], acc141 // copy acc to vreg[71]
v_accvgpr_read_b32 v[vgprValuC+16], acc26 // copy acc to vreg[72]
v_accvgpr_read_b32 v[vgprValuC+17], acc122 // copy acc to vreg[73]
v_accvgpr_read_b32 v[vgprValuC+18], acc30 // copy acc to vreg[74]
v_accvgpr_read_b32 v[vgprValuC+19], acc126 // copy acc to vreg[75]
v_accvgpr_read_b32 v[vgprValuC+20], acc34 // copy acc to vreg[76]
v_accvgpr_read_b32 v[vgprValuC+21], acc130 // copy acc to vreg[77]
v_accvgpr_read_b32 v[vgprValuC+22], acc38 // copy acc to vreg[78]
v_accvgpr_read_b32 v[vgprValuC+23], acc134 // copy acc to vreg[79]
s_nop 1                                            // 2 wait states required before reading vgpr

/* rC *= alpha batchElements=[(1, 1, 1, 0), (1, 2, 1, 0), (1, 0, 2, 0), (1, 1, 2, 0)] */

/* apply mask, calc new C and issue writes */
_buffer_store_b128 v[8:11], v6, s[sgprSrdD:sgprSrdD+3], 0, offen, offset:256 // store D
_buffer_store_b128 v[12:15], v6, s[sgprSrdD:sgprSrdD+3], 0, offen, offset:512 // store D
s_lshl_b32  s10, s[sgprStrideD1J], 3               // incToNextRow: Scale by BPE
s_add_u32  s[sgprSrdD+0], s[sgprSrdD+0], s10       // incToNextRow: gra SRD += inc(lower)
s_addc_u32  s[sgprSrdD+1], s[sgprSrdD+1], 0        // incToNextRow: gra SRD += inc(upper)
_buffer_store_b128 v[16:19], v6, s[sgprSrdD:sgprSrdD+3], 0, offen, offset:0 // store D
_buffer_store_b128 v[20:23], v6, s[sgprSrdD:sgprSrdD+3], 0, offen, offset:256 // store D
s_nop 0                                            // 1 wait state required when next inst writes vgprs held by previous dwordx4 store inst
/* optSingleColVgpr=1 optSharedColVgpr=0 optSGPRUsage=BufferLoad_Mask optSrdIncForRow=1 */

/******************************************/
/* Global Write Alpha Batch #5 (d1,d0,vc1,vc0) = */
/*    (1,2,2,0:vw2); (1,0,3,0:vw2); (1,1,3,0:vw2); (1,2,3,0:vw2) */
/******************************************/

/* calc coords, apply mask, and issue loads (if necessary) */
/* (d1,vc1,d0,vc0)=(1,2,2,0) */
/* (d1,vc1,d0,vc0)=(1,3,0,0) */
	;; [unrolled: 1-line block ×4, first 2 shown]
v_accvgpr_read_b32 v[vgprValuC+8], acc42 // copy acc to vreg[80]
v_accvgpr_read_b32 v[vgprValuC+9], acc138 // copy acc to vreg[81]
v_accvgpr_read_b32 v[vgprValuC+10], acc46 // copy acc to vreg[82]
v_accvgpr_read_b32 v[vgprValuC+11], acc142 // copy acc to vreg[83]
v_accvgpr_read_b32 v[vgprValuC+12], acc27 // copy acc to vreg[84]
v_accvgpr_read_b32 v[vgprValuC+13], acc123 // copy acc to vreg[85]
v_accvgpr_read_b32 v[vgprValuC+14], acc31 // copy acc to vreg[86]
v_accvgpr_read_b32 v[vgprValuC+15], acc127 // copy acc to vreg[87]
v_accvgpr_read_b32 v[vgprValuC+16], acc35 // copy acc to vreg[88]
v_accvgpr_read_b32 v[vgprValuC+17], acc131 // copy acc to vreg[89]
v_accvgpr_read_b32 v[vgprValuC+18], acc39 // copy acc to vreg[90]
v_accvgpr_read_b32 v[vgprValuC+19], acc135 // copy acc to vreg[91]
v_accvgpr_read_b32 v[vgprValuC+20], acc43 // copy acc to vreg[92]
v_accvgpr_read_b32 v[vgprValuC+21], acc139 // copy acc to vreg[93]
v_accvgpr_read_b32 v[vgprValuC+22], acc47 // copy acc to vreg[94]
v_accvgpr_read_b32 v[vgprValuC+23], acc143 // copy acc to vreg[95]
s_nop 1                                            // 2 wait states required before reading vgpr

/* rC *= alpha batchElements=[(1, 2, 2, 0), (1, 0, 3, 0), (1, 1, 3, 0), (1, 2, 3, 0)] */

/* apply mask, calc new C and issue writes */
_buffer_store_b128 v[8:11], v6, s[sgprSrdD:sgprSrdD+3], 0, offen, offset:512 // store D
s_lshl_b32  s10, s[sgprStrideD1J], 3               // incToNextRow: Scale by BPE
s_add_u32  s[sgprSrdD+0], s[sgprSrdD+0], s10       // incToNextRow: gra SRD += inc(lower)
s_addc_u32  s[sgprSrdD+1], s[sgprSrdD+1], 0        // incToNextRow: gra SRD += inc(upper)
_buffer_store_b128 v[12:15], v6, s[sgprSrdD:sgprSrdD+3], 0, offen, offset:0 // store D
_buffer_store_b128 v[16:19], v6, s[sgprSrdD:sgprSrdD+3], 0, offen, offset:256 // store D
_buffer_store_b128 v[20:23], v6, s[sgprSrdD:sgprSrdD+3], 0, offen, offset:512 // store D
s_nop 0                                            // 1 wait state required when next inst writes vgprs held by previous dwordx4 store inst
/* optSingleColVgpr=1 optSharedColVgpr=0 optSGPRUsage=BufferLoad_Mask optSrdIncForRow=1 */

/******************************************/
/* Global Write Alpha Batch #6 (d1,d0,vc1,vc0) = */
/*    (2,0,0,0:vw2); (2,1,0,0:vw2); (2,2,0,0:vw2); (2,0,1,0:vw2) */
/******************************************/

/* calc coords, apply mask, and issue loads (if necessary) */
/* (d1,vc1,d0,vc0)=(2,0,0,0) */
/* (d1,vc1,d0,vc0)=(2,0,1,0) */
	;; [unrolled: 1-line block ×4, first 2 shown]
v_accvgpr_read_b32 v[vgprValuC+8], acc48 // copy acc to vreg[96]
v_accvgpr_read_b32 v[vgprValuC+9], acc144 // copy acc to vreg[97]
v_accvgpr_read_b32 v[vgprValuC+10], acc52 // copy acc to vreg[98]
v_accvgpr_read_b32 v[vgprValuC+11], acc148 // copy acc to vreg[99]
v_accvgpr_read_b32 v[vgprValuC+12], acc56 // copy acc to vreg[100]
v_accvgpr_read_b32 v[vgprValuC+13], acc152 // copy acc to vreg[101]
v_accvgpr_read_b32 v[vgprValuC+14], acc60 // copy acc to vreg[102]
v_accvgpr_read_b32 v[vgprValuC+15], acc156 // copy acc to vreg[103]
v_accvgpr_read_b32 v[vgprValuC+16], acc64 // copy acc to vreg[104]
v_accvgpr_read_b32 v[vgprValuC+17], acc160 // copy acc to vreg[105]
v_accvgpr_read_b32 v[vgprValuC+18], acc68 // copy acc to vreg[106]
v_accvgpr_read_b32 v[vgprValuC+19], acc164 // copy acc to vreg[107]
v_accvgpr_read_b32 v[vgprValuC+20], acc49 // copy acc to vreg[108]
v_accvgpr_read_b32 v[vgprValuC+21], acc145 // copy acc to vreg[109]
v_accvgpr_read_b32 v[vgprValuC+22], acc53 // copy acc to vreg[110]
v_accvgpr_read_b32 v[vgprValuC+23], acc149 // copy acc to vreg[111]
s_nop 1                                            // 2 wait states required before reading vgpr

/* rC *= alpha batchElements=[(2, 0, 0, 0), (2, 1, 0, 0), (2, 2, 0, 0), (2, 0, 1, 0)] */

/* apply mask, calc new C and issue writes */
s_mul_i32 s10, s[sgprStrideD1J], 488               // scale StrideD *= numRows(61) * bpe
s_add_u32  s[sgprSrdD+0], s[sgprSrdD+0], s10       // incToNextRow: gra SRD += inc(lower)
s_addc_u32  s[sgprSrdD+1], s[sgprSrdD+1], 0        // incToNextRow: gra SRD += inc(upper)
_buffer_store_b128 v[8:11], v6, s[sgprSrdD:sgprSrdD+3], 0, offen, offset:0 // store D
_buffer_store_b128 v[12:15], v6, s[sgprSrdD:sgprSrdD+3], 0, offen, offset:256 // store D
	;; [unrolled: 1-line block ×3, first 2 shown]
s_lshl_b32  s10, s[sgprStrideD1J], 3               // incToNextRow: Scale by BPE
s_add_u32  s[sgprSrdD+0], s[sgprSrdD+0], s10       // incToNextRow: gra SRD += inc(lower)
s_addc_u32  s[sgprSrdD+1], s[sgprSrdD+1], 0        // incToNextRow: gra SRD += inc(upper)
_buffer_store_b128 v[20:23], v6, s[sgprSrdD:sgprSrdD+3], 0, offen, offset:0 // store D
s_nop 0                                            // 1 wait state required when next inst writes vgprs held by previous dwordx4 store inst
/* optSingleColVgpr=1 optSharedColVgpr=0 optSGPRUsage=BufferLoad_Mask optSrdIncForRow=1 */

/******************************************/
/* Global Write Alpha Batch #7 (d1,d0,vc1,vc0) = */
/*    (2,1,1,0:vw2); (2,2,1,0:vw2); (2,0,2,0:vw2); (2,1,2,0:vw2) */
/******************************************/

/* calc coords, apply mask, and issue loads (if necessary) */
/* (d1,vc1,d0,vc0)=(2,1,1,0) */
/* (d1,vc1,d0,vc0)=(2,1,2,0) */
	;; [unrolled: 1-line block ×4, first 2 shown]
v_accvgpr_read_b32 v[vgprValuC+8], acc57 // copy acc to vreg[112]
v_accvgpr_read_b32 v[vgprValuC+9], acc153 // copy acc to vreg[113]
v_accvgpr_read_b32 v[vgprValuC+10], acc61 // copy acc to vreg[114]
v_accvgpr_read_b32 v[vgprValuC+11], acc157 // copy acc to vreg[115]
v_accvgpr_read_b32 v[vgprValuC+12], acc65 // copy acc to vreg[116]
v_accvgpr_read_b32 v[vgprValuC+13], acc161 // copy acc to vreg[117]
v_accvgpr_read_b32 v[vgprValuC+14], acc69 // copy acc to vreg[118]
v_accvgpr_read_b32 v[vgprValuC+15], acc165 // copy acc to vreg[119]
v_accvgpr_read_b32 v[vgprValuC+16], acc50 // copy acc to vreg[120]
v_accvgpr_read_b32 v[vgprValuC+17], acc146 // copy acc to vreg[121]
v_accvgpr_read_b32 v[vgprValuC+18], acc54 // copy acc to vreg[122]
v_accvgpr_read_b32 v[vgprValuC+19], acc150 // copy acc to vreg[123]
v_accvgpr_read_b32 v[vgprValuC+20], acc58 // copy acc to vreg[124]
v_accvgpr_read_b32 v[vgprValuC+21], acc154 // copy acc to vreg[125]
v_accvgpr_read_b32 v[vgprValuC+22], acc62 // copy acc to vreg[126]
v_accvgpr_read_b32 v[vgprValuC+23], acc158 // copy acc to vreg[127]
s_nop 1                                            // 2 wait states required before reading vgpr

/* rC *= alpha batchElements=[(2, 1, 1, 0), (2, 2, 1, 0), (2, 0, 2, 0), (2, 1, 2, 0)] */

/* apply mask, calc new C and issue writes */
_buffer_store_b128 v[8:11], v6, s[sgprSrdD:sgprSrdD+3], 0, offen, offset:256 // store D
_buffer_store_b128 v[12:15], v6, s[sgprSrdD:sgprSrdD+3], 0, offen, offset:512 // store D
s_lshl_b32  s10, s[sgprStrideD1J], 3               // incToNextRow: Scale by BPE
s_add_u32  s[sgprSrdD+0], s[sgprSrdD+0], s10       // incToNextRow: gra SRD += inc(lower)
s_addc_u32  s[sgprSrdD+1], s[sgprSrdD+1], 0        // incToNextRow: gra SRD += inc(upper)
_buffer_store_b128 v[16:19], v6, s[sgprSrdD:sgprSrdD+3], 0, offen, offset:0 // store D
_buffer_store_b128 v[20:23], v6, s[sgprSrdD:sgprSrdD+3], 0, offen, offset:256 // store D
s_nop 0                                            // 1 wait state required when next inst writes vgprs held by previous dwordx4 store inst
/* optSingleColVgpr=1 optSharedColVgpr=0 optSGPRUsage=BufferLoad_Mask optSrdIncForRow=1 */

/******************************************/
/* Global Write Alpha Batch #8 (d1,d0,vc1,vc0) = */
/*    (2,2,2,0:vw2); (2,0,3,0:vw2); (2,1,3,0:vw2); (2,2,3,0:vw2) */
/******************************************/

/* calc coords, apply mask, and issue loads (if necessary) */
/* (d1,vc1,d0,vc0)=(2,2,2,0) */
/* (d1,vc1,d0,vc0)=(2,3,0,0) */
	;; [unrolled: 1-line block ×4, first 2 shown]
v_accvgpr_read_b32 v[vgprValuC+8], acc66 // copy acc to vreg[128]
v_accvgpr_read_b32 v[vgprValuC+9], acc162 // copy acc to vreg[129]
v_accvgpr_read_b32 v[vgprValuC+10], acc70 // copy acc to vreg[130]
v_accvgpr_read_b32 v[vgprValuC+11], acc166 // copy acc to vreg[131]
v_accvgpr_read_b32 v[vgprValuC+12], acc51 // copy acc to vreg[132]
v_accvgpr_read_b32 v[vgprValuC+13], acc147 // copy acc to vreg[133]
v_accvgpr_read_b32 v[vgprValuC+14], acc55 // copy acc to vreg[134]
v_accvgpr_read_b32 v[vgprValuC+15], acc151 // copy acc to vreg[135]
v_accvgpr_read_b32 v[vgprValuC+16], acc59 // copy acc to vreg[136]
v_accvgpr_read_b32 v[vgprValuC+17], acc155 // copy acc to vreg[137]
v_accvgpr_read_b32 v[vgprValuC+18], acc63 // copy acc to vreg[138]
v_accvgpr_read_b32 v[vgprValuC+19], acc159 // copy acc to vreg[139]
v_accvgpr_read_b32 v[vgprValuC+20], acc67 // copy acc to vreg[140]
v_accvgpr_read_b32 v[vgprValuC+21], acc163 // copy acc to vreg[141]
v_accvgpr_read_b32 v[vgprValuC+22], acc71 // copy acc to vreg[142]
v_accvgpr_read_b32 v[vgprValuC+23], acc167 // copy acc to vreg[143]
s_nop 1                                            // 2 wait states required before reading vgpr

/* rC *= alpha batchElements=[(2, 2, 2, 0), (2, 0, 3, 0), (2, 1, 3, 0), (2, 2, 3, 0)] */

/* apply mask, calc new C and issue writes */
_buffer_store_b128 v[8:11], v6, s[sgprSrdD:sgprSrdD+3], 0, offen, offset:512 // store D
s_lshl_b32  s10, s[sgprStrideD1J], 3               // incToNextRow: Scale by BPE
s_add_u32  s[sgprSrdD+0], s[sgprSrdD+0], s10       // incToNextRow: gra SRD += inc(lower)
s_addc_u32  s[sgprSrdD+1], s[sgprSrdD+1], 0        // incToNextRow: gra SRD += inc(upper)
_buffer_store_b128 v[12:15], v6, s[sgprSrdD:sgprSrdD+3], 0, offen, offset:0 // store D
_buffer_store_b128 v[16:19], v6, s[sgprSrdD:sgprSrdD+3], 0, offen, offset:256 // store D
_buffer_store_b128 v[20:23], v6, s[sgprSrdD:sgprSrdD+3], 0, offen, offset:512 // store D
s_nop 0                                            // 1 wait state required when next inst writes vgprs held by previous dwordx4 store inst
/* optSingleColVgpr=1 optSharedColVgpr=0 optSGPRUsage=BufferLoad_Mask optSrdIncForRow=1 */

/******************************************/
/* Global Write Alpha Batch #9 (d1,d0,vc1,vc0) = */
/*    (3,0,0,0:vw2); (3,1,0,0:vw2); (3,2,0,0:vw2); (3,0,1,0:vw2) */
/******************************************/

/* calc coords, apply mask, and issue loads (if necessary) */
/* (d1,vc1,d0,vc0)=(3,0,0,0) */
/* (d1,vc1,d0,vc0)=(3,0,1,0) */
	;; [unrolled: 1-line block ×4, first 2 shown]
v_accvgpr_read_b32 v[vgprValuC+8], acc72 // copy acc to vreg[144]
v_accvgpr_read_b32 v[vgprValuC+9], acc168 // copy acc to vreg[145]
v_accvgpr_read_b32 v[vgprValuC+10], acc76 // copy acc to vreg[146]
v_accvgpr_read_b32 v[vgprValuC+11], acc172 // copy acc to vreg[147]
v_accvgpr_read_b32 v[vgprValuC+12], acc80 // copy acc to vreg[148]
v_accvgpr_read_b32 v[vgprValuC+13], acc176 // copy acc to vreg[149]
v_accvgpr_read_b32 v[vgprValuC+14], acc84 // copy acc to vreg[150]
v_accvgpr_read_b32 v[vgprValuC+15], acc180 // copy acc to vreg[151]
v_accvgpr_read_b32 v[vgprValuC+16], acc88 // copy acc to vreg[152]
v_accvgpr_read_b32 v[vgprValuC+17], acc184 // copy acc to vreg[153]
v_accvgpr_read_b32 v[vgprValuC+18], acc92 // copy acc to vreg[154]
v_accvgpr_read_b32 v[vgprValuC+19], acc188 // copy acc to vreg[155]
v_accvgpr_read_b32 v[vgprValuC+20], acc73 // copy acc to vreg[156]
v_accvgpr_read_b32 v[vgprValuC+21], acc169 // copy acc to vreg[157]
v_accvgpr_read_b32 v[vgprValuC+22], acc77 // copy acc to vreg[158]
v_accvgpr_read_b32 v[vgprValuC+23], acc173 // copy acc to vreg[159]
s_nop 1                                            // 2 wait states required before reading vgpr

/* rC *= alpha batchElements=[(3, 0, 0, 0), (3, 1, 0, 0), (3, 2, 0, 0), (3, 0, 1, 0)] */

/* apply mask, calc new C and issue writes */
s_mul_i32 s10, s[sgprStrideD1J], 488               // scale StrideD *= numRows(61) * bpe
s_add_u32  s[sgprSrdD+0], s[sgprSrdD+0], s10       // incToNextRow: gra SRD += inc(lower)
s_addc_u32  s[sgprSrdD+1], s[sgprSrdD+1], 0        // incToNextRow: gra SRD += inc(upper)
_buffer_store_b128 v[8:11], v6, s[sgprSrdD:sgprSrdD+3], 0, offen, offset:0 // store D
_buffer_store_b128 v[12:15], v6, s[sgprSrdD:sgprSrdD+3], 0, offen, offset:256 // store D
	;; [unrolled: 1-line block ×3, first 2 shown]
s_lshl_b32  s10, s[sgprStrideD1J], 3               // incToNextRow: Scale by BPE
s_add_u32  s[sgprSrdD+0], s[sgprSrdD+0], s10       // incToNextRow: gra SRD += inc(lower)
s_addc_u32  s[sgprSrdD+1], s[sgprSrdD+1], 0        // incToNextRow: gra SRD += inc(upper)
_buffer_store_b128 v[20:23], v6, s[sgprSrdD:sgprSrdD+3], 0, offen, offset:0 // store D
s_nop 0                                            // 1 wait state required when next inst writes vgprs held by previous dwordx4 store inst
/* optSingleColVgpr=1 optSharedColVgpr=0 optSGPRUsage=BufferLoad_Mask optSrdIncForRow=1 */

/******************************************/
/* Global Write Alpha Batch #10 (d1,d0,vc1,vc0) = */
/*    (3,1,1,0:vw2); (3,2,1,0:vw2); (3,0,2,0:vw2); (3,1,2,0:vw2) */
/******************************************/

/* calc coords, apply mask, and issue loads (if necessary) */
/* (d1,vc1,d0,vc0)=(3,1,1,0) */
/* (d1,vc1,d0,vc0)=(3,1,2,0) */
	;; [unrolled: 1-line block ×4, first 2 shown]
v_accvgpr_read_b32 v[vgprValuC+8], acc81 // copy acc to vreg[160]
v_accvgpr_read_b32 v[vgprValuC+9], acc177 // copy acc to vreg[161]
v_accvgpr_read_b32 v[vgprValuC+10], acc85 // copy acc to vreg[162]
v_accvgpr_read_b32 v[vgprValuC+11], acc181 // copy acc to vreg[163]
v_accvgpr_read_b32 v[vgprValuC+12], acc89 // copy acc to vreg[164]
v_accvgpr_read_b32 v[vgprValuC+13], acc185 // copy acc to vreg[165]
v_accvgpr_read_b32 v[vgprValuC+14], acc93 // copy acc to vreg[166]
v_accvgpr_read_b32 v[vgprValuC+15], acc189 // copy acc to vreg[167]
v_accvgpr_read_b32 v[vgprValuC+16], acc74 // copy acc to vreg[168]
v_accvgpr_read_b32 v[vgprValuC+17], acc170 // copy acc to vreg[169]
v_accvgpr_read_b32 v[vgprValuC+18], acc78 // copy acc to vreg[170]
v_accvgpr_read_b32 v[vgprValuC+19], acc174 // copy acc to vreg[171]
v_accvgpr_read_b32 v[vgprValuC+20], acc82 // copy acc to vreg[172]
v_accvgpr_read_b32 v[vgprValuC+21], acc178 // copy acc to vreg[173]
v_accvgpr_read_b32 v[vgprValuC+22], acc86 // copy acc to vreg[174]
v_accvgpr_read_b32 v[vgprValuC+23], acc182 // copy acc to vreg[175]
s_nop 1                                            // 2 wait states required before reading vgpr

/* rC *= alpha batchElements=[(3, 1, 1, 0), (3, 2, 1, 0), (3, 0, 2, 0), (3, 1, 2, 0)] */

/* apply mask, calc new C and issue writes */
_buffer_store_b128 v[8:11], v6, s[sgprSrdD:sgprSrdD+3], 0, offen, offset:256 // store D
_buffer_store_b128 v[12:15], v6, s[sgprSrdD:sgprSrdD+3], 0, offen, offset:512 // store D
s_lshl_b32  s10, s[sgprStrideD1J], 3               // incToNextRow: Scale by BPE
s_add_u32  s[sgprSrdD+0], s[sgprSrdD+0], s10       // incToNextRow: gra SRD += inc(lower)
s_addc_u32  s[sgprSrdD+1], s[sgprSrdD+1], 0        // incToNextRow: gra SRD += inc(upper)
_buffer_store_b128 v[16:19], v6, s[sgprSrdD:sgprSrdD+3], 0, offen, offset:0 // store D
_buffer_store_b128 v[20:23], v6, s[sgprSrdD:sgprSrdD+3], 0, offen, offset:256 // store D
s_nop 0                                            // 1 wait state required when next inst writes vgprs held by previous dwordx4 store inst
/* optSingleColVgpr=1 optSharedColVgpr=0 optSGPRUsage=BufferLoad_Mask optSrdIncForRow=1 */

/******************************************/
/* Global Write Alpha Batch #11 (d1,d0,vc1,vc0) = */
/*    (3,2,2,0:vw2); (3,0,3,0:vw2); (3,1,3,0:vw2); (3,2,3,0:vw2) */
/******************************************/

/* calc coords, apply mask, and issue loads (if necessary) */
/* (d1,vc1,d0,vc0)=(3,2,2,0) */
/* (d1,vc1,d0,vc0)=(3,3,0,0) */
/* (d1,vc1,d0,vc0)=(3,3,1,0) */
/* (d1,vc1,d0,vc0)=(3,3,2,0) */
v_accvgpr_read_b32 v[vgprValuC+8], acc90 // copy acc to vreg[176]
v_accvgpr_read_b32 v[vgprValuC+9], acc186 // copy acc to vreg[177]
v_accvgpr_read_b32 v[vgprValuC+10], acc94 // copy acc to vreg[178]
v_accvgpr_read_b32 v[vgprValuC+11], acc190 // copy acc to vreg[179]
v_accvgpr_read_b32 v[vgprValuC+12], acc75 // copy acc to vreg[180]
v_accvgpr_read_b32 v[vgprValuC+13], acc171 // copy acc to vreg[181]
v_accvgpr_read_b32 v[vgprValuC+14], acc79 // copy acc to vreg[182]
v_accvgpr_read_b32 v[vgprValuC+15], acc175 // copy acc to vreg[183]
v_accvgpr_read_b32 v[vgprValuC+16], acc83 // copy acc to vreg[184]
v_accvgpr_read_b32 v[vgprValuC+17], acc179 // copy acc to vreg[185]
v_accvgpr_read_b32 v[vgprValuC+18], acc87 // copy acc to vreg[186]
v_accvgpr_read_b32 v[vgprValuC+19], acc183 // copy acc to vreg[187]
v_accvgpr_read_b32 v[vgprValuC+20], acc91 // copy acc to vreg[188]
v_accvgpr_read_b32 v[vgprValuC+21], acc187 // copy acc to vreg[189]
v_accvgpr_read_b32 v[vgprValuC+22], acc95 // copy acc to vreg[190]
v_accvgpr_read_b32 v[vgprValuC+23], acc191 // copy acc to vreg[191]
s_nop 1                                            // 2 wait states required before reading vgpr

/* rC *= alpha batchElements=[(3, 2, 2, 0), (3, 0, 3, 0), (3, 1, 3, 0), (3, 2, 3, 0)] */

/* apply mask, calc new C and issue writes */
_buffer_store_b128 v[8:11], v6, s[sgprSrdD:sgprSrdD+3], 0, offen, offset:512 // store D
s_lshl_b32  s10, s[sgprStrideD1J], 3               // incToNextRow: Scale by BPE
s_add_u32  s[sgprSrdD+0], s[sgprSrdD+0], s10       // incToNextRow: gra SRD += inc(lower)
s_addc_u32  s[sgprSrdD+1], s[sgprSrdD+1], 0        // incToNextRow: gra SRD += inc(upper)
_buffer_store_b128 v[12:15], v6, s[sgprSrdD:sgprSrdD+3], 0, offen, offset:0 // store D
_buffer_store_b128 v[16:19], v6, s[sgprSrdD:sgprSrdD+3], 0, offen, offset:256 // store D
	;; [unrolled: 1-line block ×3, first 2 shown]
s_nop 0                                            // 1 wait state required when next inst writes vgprs held by previous dwordx4 store inst
s_branch label_GW_End_27                           // jump to end
GW_B0_E1_25:

/* edge=1, allocate 6 sgpr. perBatchTmpS=4 perBatchMaskS=2 perElementMaskS=0 elementsPerBatch=4 */
/* optSingleColVgpr=0 optSharedColVgpr=0 optSGPRUsage=BufferLoad_Edge_Mask optSrdIncForRow=0 */

/******************************************/
/* Global Write Alpha Edge Batch #0 (d1,d0,vc1,vc0) = */
/*    (0,0,0,0:vw1); (0,0,0,1:vw1); (0,1,0,0:vw1); (0,1,0,1:vw1) */
/******************************************/

/* calc coords, apply mask, and issue loads (if necessary) */
/* (d1,vc1,d0,vc0)=(0,0,0,0) */
v_cmp_lt_u32 s[58:59], v0, s[sgprSizeI]            // coord0 < size0
v_cmp_lt_u32 s[62:63], v1, s[sgprSizeJ]            // coord1 < size1
s_and_b64 s[62:63], s[58:59], s[62:63]             // in0 && in1
_v_add_lshl_u32 v6, v3, v0, 0x3                    // scaleToBpe: accumulate d0 lower and *= bpe into Cin addr
v_cndmask_b32 v6, -1, v6, s[62:63]                 // LDD clip if OOB. offset
/* (d1,vc1,d0,vc0)=(0,0,0,1) */
_v_add_co_u32 v4, vcc, v0, 1                       // coord0.1: coord0 += d0*sg0*VW + vc0
v_cmp_lt_u32 s[58:59], v4, s[sgprSizeI]            // coord0 < size0
v_cmp_lt_u32 s[62:63], v1, s[sgprSizeJ]            // coord1 < size1
s_and_b64 s[62:63], s[58:59], s[62:63]             // in0 && in1
_v_add_lshl_u32 v7, v3, v4, 0x3                    // scaleToBpe: accumulate d0 lower and *= bpe into Cin addr
v_cndmask_b32 v7, -1, v7, s[62:63]                 // LDD clip if OOB. offset
/* (d1,vc1,d0,vc0)=(0,0,1,0) */
_v_add_co_u32 v4, vcc, v0, 32                      // coord0.1: coord0 += d0*sg0*VW + vc0
v_cmp_lt_u32 s[58:59], v4, s[sgprSizeI]            // coord0 < size0
v_cmp_lt_u32 s[62:63], v1, s[sgprSizeJ]            // coord1 < size1
s_and_b64 s[62:63], s[58:59], s[62:63]             // in0 && in1
_v_add_lshl_u32 v12, v3, v4, 0x3                   // scaleToBpe: accumulate d0 lower and *= bpe into Cin addr
v_cndmask_b32 v12, -1, v12, s[62:63]               // LDD clip if OOB. offset
/* (d1,vc1,d0,vc0)=(0,0,1,1) */
_v_add_co_u32 v4, vcc, v0, 33                      // coord0.1: coord0 += d0*sg0*VW + vc0
v_cmp_lt_u32 s[58:59], v4, s[sgprSizeI]            // coord0 < size0
v_cmp_lt_u32 s[62:63], v1, s[sgprSizeJ]            // coord1 < size1
s_and_b64 s[62:63], s[58:59], s[62:63]             // in0 && in1
_v_add_lshl_u32 v13, v3, v4, 0x3                   // scaleToBpe: accumulate d0 lower and *= bpe into Cin addr
v_cndmask_b32 v13, -1, v13, s[62:63]               // LDD clip if OOB. offset
v_accvgpr_read_b32 v[vgprValuC+8], acc0 // copy acc to vreg[0]
v_accvgpr_read_b32 v[vgprValuC+9], acc96 // copy acc to vreg[1]
v_accvgpr_read_b32 v[vgprValuC+10], acc4 // copy acc to vreg[2]
v_accvgpr_read_b32 v[vgprValuC+11], acc100 // copy acc to vreg[3]
v_accvgpr_read_b32 v[vgprValuC+14], acc8 // copy acc to vreg[4]
v_accvgpr_read_b32 v[vgprValuC+15], acc104 // copy acc to vreg[5]
v_accvgpr_read_b32 v[vgprValuC+16], acc12 // copy acc to vreg[6]
v_accvgpr_read_b32 v[vgprValuC+17], acc108 // copy acc to vreg[7]
s_nop 1                                            // 2 wait states required before reading vgpr

/* rC *= alpha batchElements=[(0, 0, 0, 0), (0, 0, 0, 1), (0, 1, 0, 0), (0, 1, 0, 1)] */

/* apply mask, calc new C and issue writes */
_buffer_store_b64 v[8:9], v6, s[sgprSrdD:sgprSrdD+3], 0, offen, offset:0 // store D
_buffer_store_b64 v[10:11], v7, s[sgprSrdD:sgprSrdD+3], 0, offen, offset:0 // store D
	;; [unrolled: 1-line block ×4, first 2 shown]
s_nop 0                                            // 1 wait state required when next inst writes vgprs held by previous dwordx4 store inst
/* optSingleColVgpr=0 optSharedColVgpr=0 optSGPRUsage=BufferLoad_Edge_Mask optSrdIncForRow=0 */

/******************************************/
/* Global Write Alpha Edge Batch #1 (d1,d0,vc1,vc0) = */
/*    (0,2,0,0:vw1); (0,2,0,1:vw1); (0,0,1,0:vw1); (0,0,1,1:vw1) */
/******************************************/

/* calc coords, apply mask, and issue loads (if necessary) */
/* (d1,vc1,d0,vc0)=(0,0,2,0) */
_v_add_co_u32 v4, vcc, v0, 64                      // coord0.1: coord0 += d0*sg0*VW + vc0
v_cmp_lt_u32 s[58:59], v4, s[sgprSizeI]            // coord0 < size0
v_cmp_lt_u32 s[62:63], v1, s[sgprSizeJ]            // coord1 < size1
s_and_b64 s[62:63], s[58:59], s[62:63]             // in0 && in1
_v_add_lshl_u32 v6, v3, v4, 0x3                    // scaleToBpe: accumulate d0 lower and *= bpe into Cin addr
v_cndmask_b32 v6, -1, v6, s[62:63]                 // LDD clip if OOB. offset
/* (d1,vc1,d0,vc0)=(0,0,2,1) */
s_mov_b32 s58, 65                                  // coordOffset0 d0=2 vc0=1
_v_add_co_u32 v4, vcc, v0, s58                     // coord0.2: coord0 += d0*sg0*VW + vc0
v_cmp_lt_u32 s[58:59], v4, s[sgprSizeI]            // coord0 < size0
v_cmp_lt_u32 s[62:63], v1, s[sgprSizeJ]            // coord1 < size1
s_and_b64 s[62:63], s[58:59], s[62:63]             // in0 && in1
_v_add_lshl_u32 v7, v3, v4, 0x3                    // scaleToBpe: accumulate d0 lower and *= bpe into Cin addr
v_cndmask_b32 v7, -1, v7, s[62:63]                 // LDD clip if OOB. offset
/* (d1,vc1,d0,vc0)=(0,1,0,0) */
_v_add_co_u32 v1, vcc, v1, 1                       // coord1.1: coord1Vgpr += d1*sg1*VW + vc1

/* Fix for UseInitialStridesCD, emitAddressSetupCode */
_v_add_u32 v2, v2, s[sgprStrideC1J]                // ROWINC- Move cinRowPtr to next row
_v_add_u32 v3, v3, s[sgprStrideD1J]                // Move coutRowPtr to next row
v_cmp_lt_u32 s[58:59], v0, s[sgprSizeI]            // coord0 < size0
v_cmp_lt_u32 s[62:63], v1, s[sgprSizeJ]            // coord1 < size1
s_and_b64 s[62:63], s[58:59], s[62:63]             // in0 && in1
_v_add_lshl_u32 v12, v3, v0, 0x3                   // scaleToBpe: accumulate d0 lower and *= bpe into Cin addr
v_cndmask_b32 v12, -1, v12, s[62:63]               // LDD clip if OOB. offset
/* (d1,vc1,d0,vc0)=(0,1,0,1) */
_v_add_co_u32 v4, vcc, v0, 1                       // coord0.1: coord0 += d0*sg0*VW + vc0
v_cmp_lt_u32 s[58:59], v4, s[sgprSizeI]            // coord0 < size0
v_cmp_lt_u32 s[62:63], v1, s[sgprSizeJ]            // coord1 < size1
s_and_b64 s[62:63], s[58:59], s[62:63]             // in0 && in1
_v_add_lshl_u32 v13, v3, v4, 0x3                   // scaleToBpe: accumulate d0 lower and *= bpe into Cin addr
v_cndmask_b32 v13, -1, v13, s[62:63]               // LDD clip if OOB. offset
v_accvgpr_read_b32 v[vgprValuC+8], acc16 // copy acc to vreg[8]
v_accvgpr_read_b32 v[vgprValuC+9], acc112 // copy acc to vreg[9]
v_accvgpr_read_b32 v[vgprValuC+10], acc20 // copy acc to vreg[10]
v_accvgpr_read_b32 v[vgprValuC+11], acc116 // copy acc to vreg[11]
v_accvgpr_read_b32 v[vgprValuC+14], acc1 // copy acc to vreg[12]
v_accvgpr_read_b32 v[vgprValuC+15], acc97 // copy acc to vreg[13]
v_accvgpr_read_b32 v[vgprValuC+16], acc5 // copy acc to vreg[14]
v_accvgpr_read_b32 v[vgprValuC+17], acc101 // copy acc to vreg[15]
s_nop 1                                            // 2 wait states required before reading vgpr

/* rC *= alpha batchElements=[(0, 2, 0, 0), (0, 2, 0, 1), (0, 0, 1, 0), (0, 0, 1, 1)] */

/* apply mask, calc new C and issue writes */
_buffer_store_b64 v[8:9], v6, s[sgprSrdD:sgprSrdD+3], 0, offen, offset:0 // store D
_buffer_store_b64 v[10:11], v7, s[sgprSrdD:sgprSrdD+3], 0, offen, offset:0 // store D
	;; [unrolled: 1-line block ×4, first 2 shown]
s_nop 0                                            // 1 wait state required when next inst writes vgprs held by previous dwordx4 store inst
/* optSingleColVgpr=0 optSharedColVgpr=0 optSGPRUsage=BufferLoad_Edge_Mask optSrdIncForRow=0 */

/******************************************/
/* Global Write Alpha Edge Batch #2 (d1,d0,vc1,vc0) = */
/*    (0,1,1,0:vw1); (0,1,1,1:vw1); (0,2,1,0:vw1); (0,2,1,1:vw1) */
/******************************************/

/* calc coords, apply mask, and issue loads (if necessary) */
/* (d1,vc1,d0,vc0)=(0,1,1,0) */
_v_add_co_u32 v4, vcc, v0, 32                      // coord0.1: coord0 += d0*sg0*VW + vc0
v_cmp_lt_u32 s[58:59], v4, s[sgprSizeI]            // coord0 < size0
v_cmp_lt_u32 s[62:63], v1, s[sgprSizeJ]            // coord1 < size1
s_and_b64 s[62:63], s[58:59], s[62:63]             // in0 && in1
_v_add_lshl_u32 v6, v3, v4, 0x3                    // scaleToBpe: accumulate d0 lower and *= bpe into Cin addr
v_cndmask_b32 v6, -1, v6, s[62:63]                 // LDD clip if OOB. offset
/* (d1,vc1,d0,vc0)=(0,1,1,1) */
_v_add_co_u32 v4, vcc, v0, 33                      // coord0.1: coord0 += d0*sg0*VW + vc0
v_cmp_lt_u32 s[58:59], v4, s[sgprSizeI]            // coord0 < size0
v_cmp_lt_u32 s[62:63], v1, s[sgprSizeJ]            // coord1 < size1
s_and_b64 s[62:63], s[58:59], s[62:63]             // in0 && in1
_v_add_lshl_u32 v7, v3, v4, 0x3                    // scaleToBpe: accumulate d0 lower and *= bpe into Cin addr
v_cndmask_b32 v7, -1, v7, s[62:63]                 // LDD clip if OOB. offset
/* (d1,vc1,d0,vc0)=(0,1,2,0) */
_v_add_co_u32 v4, vcc, v0, 64                      // coord0.1: coord0 += d0*sg0*VW + vc0
v_cmp_lt_u32 s[58:59], v4, s[sgprSizeI]            // coord0 < size0
v_cmp_lt_u32 s[62:63], v1, s[sgprSizeJ]            // coord1 < size1
s_and_b64 s[62:63], s[58:59], s[62:63]             // in0 && in1
_v_add_lshl_u32 v12, v3, v4, 0x3                   // scaleToBpe: accumulate d0 lower and *= bpe into Cin addr
v_cndmask_b32 v12, -1, v12, s[62:63]               // LDD clip if OOB. offset
/* (d1,vc1,d0,vc0)=(0,1,2,1) */
s_mov_b32 s58, 65                                  // coordOffset0 d0=2 vc0=1
_v_add_co_u32 v4, vcc, v0, s58                     // coord0.2: coord0 += d0*sg0*VW + vc0
v_cmp_lt_u32 s[58:59], v4, s[sgprSizeI]            // coord0 < size0
v_cmp_lt_u32 s[62:63], v1, s[sgprSizeJ]            // coord1 < size1
s_and_b64 s[62:63], s[58:59], s[62:63]             // in0 && in1
_v_add_lshl_u32 v13, v3, v4, 0x3                   // scaleToBpe: accumulate d0 lower and *= bpe into Cin addr
v_cndmask_b32 v13, -1, v13, s[62:63]               // LDD clip if OOB. offset
v_accvgpr_read_b32 v[vgprValuC+8], acc9 // copy acc to vreg[16]
v_accvgpr_read_b32 v[vgprValuC+9], acc105 // copy acc to vreg[17]
v_accvgpr_read_b32 v[vgprValuC+10], acc13 // copy acc to vreg[18]
v_accvgpr_read_b32 v[vgprValuC+11], acc109 // copy acc to vreg[19]
v_accvgpr_read_b32 v[vgprValuC+14], acc17 // copy acc to vreg[20]
v_accvgpr_read_b32 v[vgprValuC+15], acc113 // copy acc to vreg[21]
v_accvgpr_read_b32 v[vgprValuC+16], acc21 // copy acc to vreg[22]
v_accvgpr_read_b32 v[vgprValuC+17], acc117 // copy acc to vreg[23]
s_nop 1                                            // 2 wait states required before reading vgpr

/* rC *= alpha batchElements=[(0, 1, 1, 0), (0, 1, 1, 1), (0, 2, 1, 0), (0, 2, 1, 1)] */

/* apply mask, calc new C and issue writes */
_buffer_store_b64 v[8:9], v6, s[sgprSrdD:sgprSrdD+3], 0, offen, offset:0 // store D
_buffer_store_b64 v[10:11], v7, s[sgprSrdD:sgprSrdD+3], 0, offen, offset:0 // store D
	;; [unrolled: 1-line block ×4, first 2 shown]
s_nop 0                                            // 1 wait state required when next inst writes vgprs held by previous dwordx4 store inst
/* optSingleColVgpr=0 optSharedColVgpr=0 optSGPRUsage=BufferLoad_Edge_Mask optSrdIncForRow=0 */

/******************************************/
/* Global Write Alpha Edge Batch #3 (d1,d0,vc1,vc0) = */
/*    (0,0,2,0:vw1); (0,0,2,1:vw1); (0,1,2,0:vw1); (0,1,2,1:vw1) */
/******************************************/

/* calc coords, apply mask, and issue loads (if necessary) */
/* (d1,vc1,d0,vc0)=(0,2,0,0) */
_v_add_co_u32 v1, vcc, v1, 1                       // coord1.1: coord1Vgpr += d1*sg1*VW + vc1

/* Fix for UseInitialStridesCD, emitAddressSetupCode */
_v_add_u32 v2, v2, s[sgprStrideC1J]                // ROWINC- Move cinRowPtr to next row
_v_add_u32 v3, v3, s[sgprStrideD1J]                // Move coutRowPtr to next row
v_cmp_lt_u32 s[58:59], v0, s[sgprSizeI]            // coord0 < size0
v_cmp_lt_u32 s[62:63], v1, s[sgprSizeJ]            // coord1 < size1
s_and_b64 s[62:63], s[58:59], s[62:63]             // in0 && in1
_v_add_lshl_u32 v6, v3, v0, 0x3                    // scaleToBpe: accumulate d0 lower and *= bpe into Cin addr
v_cndmask_b32 v6, -1, v6, s[62:63]                 // LDD clip if OOB. offset
/* (d1,vc1,d0,vc0)=(0,2,0,1) */
_v_add_co_u32 v4, vcc, v0, 1                       // coord0.1: coord0 += d0*sg0*VW + vc0
v_cmp_lt_u32 s[58:59], v4, s[sgprSizeI]            // coord0 < size0
v_cmp_lt_u32 s[62:63], v1, s[sgprSizeJ]            // coord1 < size1
s_and_b64 s[62:63], s[58:59], s[62:63]             // in0 && in1
_v_add_lshl_u32 v7, v3, v4, 0x3                    // scaleToBpe: accumulate d0 lower and *= bpe into Cin addr
v_cndmask_b32 v7, -1, v7, s[62:63]                 // LDD clip if OOB. offset
/* (d1,vc1,d0,vc0)=(0,2,1,0) */
_v_add_co_u32 v4, vcc, v0, 32                      // coord0.1: coord0 += d0*sg0*VW + vc0
v_cmp_lt_u32 s[58:59], v4, s[sgprSizeI]            // coord0 < size0
v_cmp_lt_u32 s[62:63], v1, s[sgprSizeJ]            // coord1 < size1
s_and_b64 s[62:63], s[58:59], s[62:63]             // in0 && in1
_v_add_lshl_u32 v12, v3, v4, 0x3                   // scaleToBpe: accumulate d0 lower and *= bpe into Cin addr
v_cndmask_b32 v12, -1, v12, s[62:63]               // LDD clip if OOB. offset
/* (d1,vc1,d0,vc0)=(0,2,1,1) */
_v_add_co_u32 v4, vcc, v0, 33                      // coord0.1: coord0 += d0*sg0*VW + vc0
v_cmp_lt_u32 s[58:59], v4, s[sgprSizeI]            // coord0 < size0
v_cmp_lt_u32 s[62:63], v1, s[sgprSizeJ]            // coord1 < size1
s_and_b64 s[62:63], s[58:59], s[62:63]             // in0 && in1
_v_add_lshl_u32 v13, v3, v4, 0x3                   // scaleToBpe: accumulate d0 lower and *= bpe into Cin addr
v_cndmask_b32 v13, -1, v13, s[62:63]               // LDD clip if OOB. offset
v_accvgpr_read_b32 v[vgprValuC+8], acc2 // copy acc to vreg[24]
v_accvgpr_read_b32 v[vgprValuC+9], acc98 // copy acc to vreg[25]
v_accvgpr_read_b32 v[vgprValuC+10], acc6 // copy acc to vreg[26]
v_accvgpr_read_b32 v[vgprValuC+11], acc102 // copy acc to vreg[27]
v_accvgpr_read_b32 v[vgprValuC+14], acc10 // copy acc to vreg[28]
v_accvgpr_read_b32 v[vgprValuC+15], acc106 // copy acc to vreg[29]
v_accvgpr_read_b32 v[vgprValuC+16], acc14 // copy acc to vreg[30]
v_accvgpr_read_b32 v[vgprValuC+17], acc110 // copy acc to vreg[31]
s_nop 1                                            // 2 wait states required before reading vgpr

/* rC *= alpha batchElements=[(0, 0, 2, 0), (0, 0, 2, 1), (0, 1, 2, 0), (0, 1, 2, 1)] */

/* apply mask, calc new C and issue writes */
_buffer_store_b64 v[8:9], v6, s[sgprSrdD:sgprSrdD+3], 0, offen, offset:0 // store D
_buffer_store_b64 v[10:11], v7, s[sgprSrdD:sgprSrdD+3], 0, offen, offset:0 // store D
	;; [unrolled: 1-line block ×4, first 2 shown]
s_nop 0                                            // 1 wait state required when next inst writes vgprs held by previous dwordx4 store inst
/* optSingleColVgpr=0 optSharedColVgpr=0 optSGPRUsage=BufferLoad_Edge_Mask optSrdIncForRow=0 */

/******************************************/
/* Global Write Alpha Edge Batch #4 (d1,d0,vc1,vc0) = */
/*    (0,2,2,0:vw1); (0,2,2,1:vw1); (0,0,3,0:vw1); (0,0,3,1:vw1) */
/******************************************/

/* calc coords, apply mask, and issue loads (if necessary) */
/* (d1,vc1,d0,vc0)=(0,2,2,0) */
_v_add_co_u32 v4, vcc, v0, 64                      // coord0.1: coord0 += d0*sg0*VW + vc0
v_cmp_lt_u32 s[58:59], v4, s[sgprSizeI]            // coord0 < size0
v_cmp_lt_u32 s[62:63], v1, s[sgprSizeJ]            // coord1 < size1
s_and_b64 s[62:63], s[58:59], s[62:63]             // in0 && in1
_v_add_lshl_u32 v6, v3, v4, 0x3                    // scaleToBpe: accumulate d0 lower and *= bpe into Cin addr
v_cndmask_b32 v6, -1, v6, s[62:63]                 // LDD clip if OOB. offset
/* (d1,vc1,d0,vc0)=(0,2,2,1) */
s_mov_b32 s58, 65                                  // coordOffset0 d0=2 vc0=1
_v_add_co_u32 v4, vcc, v0, s58                     // coord0.2: coord0 += d0*sg0*VW + vc0
v_cmp_lt_u32 s[58:59], v4, s[sgprSizeI]            // coord0 < size0
v_cmp_lt_u32 s[62:63], v1, s[sgprSizeJ]            // coord1 < size1
s_and_b64 s[62:63], s[58:59], s[62:63]             // in0 && in1
_v_add_lshl_u32 v7, v3, v4, 0x3                    // scaleToBpe: accumulate d0 lower and *= bpe into Cin addr
v_cndmask_b32 v7, -1, v7, s[62:63]                 // LDD clip if OOB. offset
/* (d1,vc1,d0,vc0)=(0,3,0,0) */
_v_add_co_u32 v1, vcc, v1, 1                       // coord1.1: coord1Vgpr += d1*sg1*VW + vc1

/* Fix for UseInitialStridesCD, emitAddressSetupCode */
_v_add_u32 v2, v2, s[sgprStrideC1J]                // ROWINC- Move cinRowPtr to next row
_v_add_u32 v3, v3, s[sgprStrideD1J]                // Move coutRowPtr to next row
v_cmp_lt_u32 s[58:59], v0, s[sgprSizeI]            // coord0 < size0
v_cmp_lt_u32 s[62:63], v1, s[sgprSizeJ]            // coord1 < size1
s_and_b64 s[62:63], s[58:59], s[62:63]             // in0 && in1
_v_add_lshl_u32 v12, v3, v0, 0x3                   // scaleToBpe: accumulate d0 lower and *= bpe into Cin addr
v_cndmask_b32 v12, -1, v12, s[62:63]               // LDD clip if OOB. offset
/* (d1,vc1,d0,vc0)=(0,3,0,1) */
_v_add_co_u32 v4, vcc, v0, 1                       // coord0.1: coord0 += d0*sg0*VW + vc0
v_cmp_lt_u32 s[58:59], v4, s[sgprSizeI]            // coord0 < size0
v_cmp_lt_u32 s[62:63], v1, s[sgprSizeJ]            // coord1 < size1
s_and_b64 s[62:63], s[58:59], s[62:63]             // in0 && in1
_v_add_lshl_u32 v13, v3, v4, 0x3                   // scaleToBpe: accumulate d0 lower and *= bpe into Cin addr
v_cndmask_b32 v13, -1, v13, s[62:63]               // LDD clip if OOB. offset
v_accvgpr_read_b32 v[vgprValuC+8], acc18 // copy acc to vreg[32]
v_accvgpr_read_b32 v[vgprValuC+9], acc114 // copy acc to vreg[33]
v_accvgpr_read_b32 v[vgprValuC+10], acc22 // copy acc to vreg[34]
v_accvgpr_read_b32 v[vgprValuC+11], acc118 // copy acc to vreg[35]
v_accvgpr_read_b32 v[vgprValuC+14], acc3 // copy acc to vreg[36]
v_accvgpr_read_b32 v[vgprValuC+15], acc99 // copy acc to vreg[37]
v_accvgpr_read_b32 v[vgprValuC+16], acc7 // copy acc to vreg[38]
v_accvgpr_read_b32 v[vgprValuC+17], acc103 // copy acc to vreg[39]
s_nop 1                                            // 2 wait states required before reading vgpr

/* rC *= alpha batchElements=[(0, 2, 2, 0), (0, 2, 2, 1), (0, 0, 3, 0), (0, 0, 3, 1)] */

/* apply mask, calc new C and issue writes */
_buffer_store_b64 v[8:9], v6, s[sgprSrdD:sgprSrdD+3], 0, offen, offset:0 // store D
_buffer_store_b64 v[10:11], v7, s[sgprSrdD:sgprSrdD+3], 0, offen, offset:0 // store D
	;; [unrolled: 1-line block ×4, first 2 shown]
s_nop 0                                            // 1 wait state required when next inst writes vgprs held by previous dwordx4 store inst
/* optSingleColVgpr=0 optSharedColVgpr=0 optSGPRUsage=BufferLoad_Edge_Mask optSrdIncForRow=0 */

/******************************************/
/* Global Write Alpha Edge Batch #5 (d1,d0,vc1,vc0) = */
/*    (0,1,3,0:vw1); (0,1,3,1:vw1); (0,2,3,0:vw1); (0,2,3,1:vw1) */
/******************************************/

/* calc coords, apply mask, and issue loads (if necessary) */
/* (d1,vc1,d0,vc0)=(0,3,1,0) */
_v_add_co_u32 v4, vcc, v0, 32                      // coord0.1: coord0 += d0*sg0*VW + vc0
v_cmp_lt_u32 s[58:59], v4, s[sgprSizeI]            // coord0 < size0
v_cmp_lt_u32 s[62:63], v1, s[sgprSizeJ]            // coord1 < size1
s_and_b64 s[62:63], s[58:59], s[62:63]             // in0 && in1
_v_add_lshl_u32 v6, v3, v4, 0x3                    // scaleToBpe: accumulate d0 lower and *= bpe into Cin addr
v_cndmask_b32 v6, -1, v6, s[62:63]                 // LDD clip if OOB. offset
/* (d1,vc1,d0,vc0)=(0,3,1,1) */
_v_add_co_u32 v4, vcc, v0, 33                      // coord0.1: coord0 += d0*sg0*VW + vc0
v_cmp_lt_u32 s[58:59], v4, s[sgprSizeI]            // coord0 < size0
v_cmp_lt_u32 s[62:63], v1, s[sgprSizeJ]            // coord1 < size1
s_and_b64 s[62:63], s[58:59], s[62:63]             // in0 && in1
_v_add_lshl_u32 v7, v3, v4, 0x3                    // scaleToBpe: accumulate d0 lower and *= bpe into Cin addr
v_cndmask_b32 v7, -1, v7, s[62:63]                 // LDD clip if OOB. offset
/* (d1,vc1,d0,vc0)=(0,3,2,0) */
_v_add_co_u32 v4, vcc, v0, 64                      // coord0.1: coord0 += d0*sg0*VW + vc0
v_cmp_lt_u32 s[58:59], v4, s[sgprSizeI]            // coord0 < size0
v_cmp_lt_u32 s[62:63], v1, s[sgprSizeJ]            // coord1 < size1
s_and_b64 s[62:63], s[58:59], s[62:63]             // in0 && in1
_v_add_lshl_u32 v12, v3, v4, 0x3                   // scaleToBpe: accumulate d0 lower and *= bpe into Cin addr
v_cndmask_b32 v12, -1, v12, s[62:63]               // LDD clip if OOB. offset
/* (d1,vc1,d0,vc0)=(0,3,2,1) */
s_mov_b32 s58, 65                                  // coordOffset0 d0=2 vc0=1
_v_add_co_u32 v4, vcc, v0, s58                     // coord0.2: coord0 += d0*sg0*VW + vc0
v_cmp_lt_u32 s[58:59], v4, s[sgprSizeI]            // coord0 < size0
v_cmp_lt_u32 s[62:63], v1, s[sgprSizeJ]            // coord1 < size1
s_and_b64 s[62:63], s[58:59], s[62:63]             // in0 && in1
_v_add_lshl_u32 v13, v3, v4, 0x3                   // scaleToBpe: accumulate d0 lower and *= bpe into Cin addr
v_cndmask_b32 v13, -1, v13, s[62:63]               // LDD clip if OOB. offset
v_accvgpr_read_b32 v[vgprValuC+8], acc11 // copy acc to vreg[40]
v_accvgpr_read_b32 v[vgprValuC+9], acc107 // copy acc to vreg[41]
v_accvgpr_read_b32 v[vgprValuC+10], acc15 // copy acc to vreg[42]
v_accvgpr_read_b32 v[vgprValuC+11], acc111 // copy acc to vreg[43]
v_accvgpr_read_b32 v[vgprValuC+14], acc19 // copy acc to vreg[44]
v_accvgpr_read_b32 v[vgprValuC+15], acc115 // copy acc to vreg[45]
v_accvgpr_read_b32 v[vgprValuC+16], acc23 // copy acc to vreg[46]
v_accvgpr_read_b32 v[vgprValuC+17], acc119 // copy acc to vreg[47]
s_nop 1                                            // 2 wait states required before reading vgpr

/* rC *= alpha batchElements=[(0, 1, 3, 0), (0, 1, 3, 1), (0, 2, 3, 0), (0, 2, 3, 1)] */

/* apply mask, calc new C and issue writes */
_buffer_store_b64 v[8:9], v6, s[sgprSrdD:sgprSrdD+3], 0, offen, offset:0 // store D
_buffer_store_b64 v[10:11], v7, s[sgprSrdD:sgprSrdD+3], 0, offen, offset:0 // store D
	;; [unrolled: 1-line block ×4, first 2 shown]
s_nop 0                                            // 1 wait state required when next inst writes vgprs held by previous dwordx4 store inst
/* optSingleColVgpr=0 optSharedColVgpr=0 optSGPRUsage=BufferLoad_Edge_Mask optSrdIncForRow=0 */

/******************************************/
/* Global Write Alpha Edge Batch #6 (d1,d0,vc1,vc0) = */
/*    (1,0,0,0:vw1); (1,0,0,1:vw1); (1,1,0,0:vw1); (1,1,0,1:vw1) */
/******************************************/

/* calc coords, apply mask, and issue loads (if necessary) */
/* (d1,vc1,d0,vc0)=(1,0,0,0) */
_v_add_co_u32 v1, vcc, v1, 61                      // coord1.1: coord1Vgpr += d1*sg1*VW + vc1

/* Fix for UseInitialStridesCD, emitAddressSetupCode */
s_mul_i32 s58, s[sgprStrideC1J], 61                // scale stride
_v_add_u32 v2, v2, s58                             // ROWINC- Move cinRowPtr to next row
s_mul_i32 s58, s[sgprStrideD1J], 61                // scale stride
_v_add_u32 v3, v3, s58                             // Move coutRowPtr to next row
v_cmp_lt_u32 s[58:59], v0, s[sgprSizeI]            // coord0 < size0
v_cmp_lt_u32 s[62:63], v1, s[sgprSizeJ]            // coord1 < size1
s_and_b64 s[62:63], s[58:59], s[62:63]             // in0 && in1
_v_add_lshl_u32 v6, v3, v0, 0x3                    // scaleToBpe: accumulate d0 lower and *= bpe into Cin addr
v_cndmask_b32 v6, -1, v6, s[62:63]                 // LDD clip if OOB. offset
/* (d1,vc1,d0,vc0)=(1,0,0,1) */
_v_add_co_u32 v4, vcc, v0, 1                       // coord0.1: coord0 += d0*sg0*VW + vc0
v_cmp_lt_u32 s[58:59], v4, s[sgprSizeI]            // coord0 < size0
v_cmp_lt_u32 s[62:63], v1, s[sgprSizeJ]            // coord1 < size1
s_and_b64 s[62:63], s[58:59], s[62:63]             // in0 && in1
_v_add_lshl_u32 v7, v3, v4, 0x3                    // scaleToBpe: accumulate d0 lower and *= bpe into Cin addr
v_cndmask_b32 v7, -1, v7, s[62:63]                 // LDD clip if OOB. offset
/* (d1,vc1,d0,vc0)=(1,0,1,0) */
_v_add_co_u32 v4, vcc, v0, 32                      // coord0.1: coord0 += d0*sg0*VW + vc0
v_cmp_lt_u32 s[58:59], v4, s[sgprSizeI]            // coord0 < size0
v_cmp_lt_u32 s[62:63], v1, s[sgprSizeJ]            // coord1 < size1
s_and_b64 s[62:63], s[58:59], s[62:63]             // in0 && in1
_v_add_lshl_u32 v12, v3, v4, 0x3                   // scaleToBpe: accumulate d0 lower and *= bpe into Cin addr
v_cndmask_b32 v12, -1, v12, s[62:63]               // LDD clip if OOB. offset
/* (d1,vc1,d0,vc0)=(1,0,1,1) */
_v_add_co_u32 v4, vcc, v0, 33                      // coord0.1: coord0 += d0*sg0*VW + vc0
v_cmp_lt_u32 s[58:59], v4, s[sgprSizeI]            // coord0 < size0
v_cmp_lt_u32 s[62:63], v1, s[sgprSizeJ]            // coord1 < size1
s_and_b64 s[62:63], s[58:59], s[62:63]             // in0 && in1
_v_add_lshl_u32 v13, v3, v4, 0x3                   // scaleToBpe: accumulate d0 lower and *= bpe into Cin addr
v_cndmask_b32 v13, -1, v13, s[62:63]               // LDD clip if OOB. offset
v_accvgpr_read_b32 v[vgprValuC+8], acc24 // copy acc to vreg[48]
v_accvgpr_read_b32 v[vgprValuC+9], acc120 // copy acc to vreg[49]
v_accvgpr_read_b32 v[vgprValuC+10], acc28 // copy acc to vreg[50]
v_accvgpr_read_b32 v[vgprValuC+11], acc124 // copy acc to vreg[51]
v_accvgpr_read_b32 v[vgprValuC+14], acc32 // copy acc to vreg[52]
v_accvgpr_read_b32 v[vgprValuC+15], acc128 // copy acc to vreg[53]
v_accvgpr_read_b32 v[vgprValuC+16], acc36 // copy acc to vreg[54]
v_accvgpr_read_b32 v[vgprValuC+17], acc132 // copy acc to vreg[55]
s_nop 1                                            // 2 wait states required before reading vgpr

/* rC *= alpha batchElements=[(1, 0, 0, 0), (1, 0, 0, 1), (1, 1, 0, 0), (1, 1, 0, 1)] */

/* apply mask, calc new C and issue writes */
_buffer_store_b64 v[8:9], v6, s[sgprSrdD:sgprSrdD+3], 0, offen, offset:0 // store D
_buffer_store_b64 v[10:11], v7, s[sgprSrdD:sgprSrdD+3], 0, offen, offset:0 // store D
	;; [unrolled: 1-line block ×4, first 2 shown]
s_nop 0                                            // 1 wait state required when next inst writes vgprs held by previous dwordx4 store inst
/* optSingleColVgpr=0 optSharedColVgpr=0 optSGPRUsage=BufferLoad_Edge_Mask optSrdIncForRow=0 */

/******************************************/
/* Global Write Alpha Edge Batch #7 (d1,d0,vc1,vc0) = */
/*    (1,2,0,0:vw1); (1,2,0,1:vw1); (1,0,1,0:vw1); (1,0,1,1:vw1) */
/******************************************/

/* calc coords, apply mask, and issue loads (if necessary) */
/* (d1,vc1,d0,vc0)=(1,0,2,0) */
_v_add_co_u32 v4, vcc, v0, 64                      // coord0.1: coord0 += d0*sg0*VW + vc0
v_cmp_lt_u32 s[58:59], v4, s[sgprSizeI]            // coord0 < size0
v_cmp_lt_u32 s[62:63], v1, s[sgprSizeJ]            // coord1 < size1
s_and_b64 s[62:63], s[58:59], s[62:63]             // in0 && in1
_v_add_lshl_u32 v6, v3, v4, 0x3                    // scaleToBpe: accumulate d0 lower and *= bpe into Cin addr
v_cndmask_b32 v6, -1, v6, s[62:63]                 // LDD clip if OOB. offset
/* (d1,vc1,d0,vc0)=(1,0,2,1) */
s_mov_b32 s58, 65                                  // coordOffset0 d0=2 vc0=1
_v_add_co_u32 v4, vcc, v0, s58                     // coord0.2: coord0 += d0*sg0*VW + vc0
v_cmp_lt_u32 s[58:59], v4, s[sgprSizeI]            // coord0 < size0
v_cmp_lt_u32 s[62:63], v1, s[sgprSizeJ]            // coord1 < size1
s_and_b64 s[62:63], s[58:59], s[62:63]             // in0 && in1
_v_add_lshl_u32 v7, v3, v4, 0x3                    // scaleToBpe: accumulate d0 lower and *= bpe into Cin addr
v_cndmask_b32 v7, -1, v7, s[62:63]                 // LDD clip if OOB. offset
/* (d1,vc1,d0,vc0)=(1,1,0,0) */
_v_add_co_u32 v1, vcc, v1, 1                       // coord1.1: coord1Vgpr += d1*sg1*VW + vc1

/* Fix for UseInitialStridesCD, emitAddressSetupCode */
_v_add_u32 v2, v2, s[sgprStrideC1J]                // ROWINC- Move cinRowPtr to next row
_v_add_u32 v3, v3, s[sgprStrideD1J]                // Move coutRowPtr to next row
v_cmp_lt_u32 s[58:59], v0, s[sgprSizeI]            // coord0 < size0
v_cmp_lt_u32 s[62:63], v1, s[sgprSizeJ]            // coord1 < size1
s_and_b64 s[62:63], s[58:59], s[62:63]             // in0 && in1
_v_add_lshl_u32 v12, v3, v0, 0x3                   // scaleToBpe: accumulate d0 lower and *= bpe into Cin addr
v_cndmask_b32 v12, -1, v12, s[62:63]               // LDD clip if OOB. offset
/* (d1,vc1,d0,vc0)=(1,1,0,1) */
_v_add_co_u32 v4, vcc, v0, 1                       // coord0.1: coord0 += d0*sg0*VW + vc0
v_cmp_lt_u32 s[58:59], v4, s[sgprSizeI]            // coord0 < size0
v_cmp_lt_u32 s[62:63], v1, s[sgprSizeJ]            // coord1 < size1
s_and_b64 s[62:63], s[58:59], s[62:63]             // in0 && in1
_v_add_lshl_u32 v13, v3, v4, 0x3                   // scaleToBpe: accumulate d0 lower and *= bpe into Cin addr
v_cndmask_b32 v13, -1, v13, s[62:63]               // LDD clip if OOB. offset
v_accvgpr_read_b32 v[vgprValuC+8], acc40 // copy acc to vreg[56]
v_accvgpr_read_b32 v[vgprValuC+9], acc136 // copy acc to vreg[57]
v_accvgpr_read_b32 v[vgprValuC+10], acc44 // copy acc to vreg[58]
v_accvgpr_read_b32 v[vgprValuC+11], acc140 // copy acc to vreg[59]
v_accvgpr_read_b32 v[vgprValuC+14], acc25 // copy acc to vreg[60]
v_accvgpr_read_b32 v[vgprValuC+15], acc121 // copy acc to vreg[61]
v_accvgpr_read_b32 v[vgprValuC+16], acc29 // copy acc to vreg[62]
v_accvgpr_read_b32 v[vgprValuC+17], acc125 // copy acc to vreg[63]
s_nop 1                                            // 2 wait states required before reading vgpr

/* rC *= alpha batchElements=[(1, 2, 0, 0), (1, 2, 0, 1), (1, 0, 1, 0), (1, 0, 1, 1)] */

/* apply mask, calc new C and issue writes */
_buffer_store_b64 v[8:9], v6, s[sgprSrdD:sgprSrdD+3], 0, offen, offset:0 // store D
_buffer_store_b64 v[10:11], v7, s[sgprSrdD:sgprSrdD+3], 0, offen, offset:0 // store D
	;; [unrolled: 1-line block ×4, first 2 shown]
s_nop 0                                            // 1 wait state required when next inst writes vgprs held by previous dwordx4 store inst
/* optSingleColVgpr=0 optSharedColVgpr=0 optSGPRUsage=BufferLoad_Edge_Mask optSrdIncForRow=0 */

/******************************************/
/* Global Write Alpha Edge Batch #8 (d1,d0,vc1,vc0) = */
/*    (1,1,1,0:vw1); (1,1,1,1:vw1); (1,2,1,0:vw1); (1,2,1,1:vw1) */
/******************************************/

/* calc coords, apply mask, and issue loads (if necessary) */
/* (d1,vc1,d0,vc0)=(1,1,1,0) */
_v_add_co_u32 v4, vcc, v0, 32                      // coord0.1: coord0 += d0*sg0*VW + vc0
v_cmp_lt_u32 s[58:59], v4, s[sgprSizeI]            // coord0 < size0
v_cmp_lt_u32 s[62:63], v1, s[sgprSizeJ]            // coord1 < size1
s_and_b64 s[62:63], s[58:59], s[62:63]             // in0 && in1
_v_add_lshl_u32 v6, v3, v4, 0x3                    // scaleToBpe: accumulate d0 lower and *= bpe into Cin addr
v_cndmask_b32 v6, -1, v6, s[62:63]                 // LDD clip if OOB. offset
/* (d1,vc1,d0,vc0)=(1,1,1,1) */
_v_add_co_u32 v4, vcc, v0, 33                      // coord0.1: coord0 += d0*sg0*VW + vc0
v_cmp_lt_u32 s[58:59], v4, s[sgprSizeI]            // coord0 < size0
v_cmp_lt_u32 s[62:63], v1, s[sgprSizeJ]            // coord1 < size1
s_and_b64 s[62:63], s[58:59], s[62:63]             // in0 && in1
_v_add_lshl_u32 v7, v3, v4, 0x3                    // scaleToBpe: accumulate d0 lower and *= bpe into Cin addr
v_cndmask_b32 v7, -1, v7, s[62:63]                 // LDD clip if OOB. offset
/* (d1,vc1,d0,vc0)=(1,1,2,0) */
_v_add_co_u32 v4, vcc, v0, 64                      // coord0.1: coord0 += d0*sg0*VW + vc0
v_cmp_lt_u32 s[58:59], v4, s[sgprSizeI]            // coord0 < size0
v_cmp_lt_u32 s[62:63], v1, s[sgprSizeJ]            // coord1 < size1
s_and_b64 s[62:63], s[58:59], s[62:63]             // in0 && in1
_v_add_lshl_u32 v12, v3, v4, 0x3                   // scaleToBpe: accumulate d0 lower and *= bpe into Cin addr
v_cndmask_b32 v12, -1, v12, s[62:63]               // LDD clip if OOB. offset
/* (d1,vc1,d0,vc0)=(1,1,2,1) */
s_mov_b32 s58, 65                                  // coordOffset0 d0=2 vc0=1
_v_add_co_u32 v4, vcc, v0, s58                     // coord0.2: coord0 += d0*sg0*VW + vc0
v_cmp_lt_u32 s[58:59], v4, s[sgprSizeI]            // coord0 < size0
v_cmp_lt_u32 s[62:63], v1, s[sgprSizeJ]            // coord1 < size1
s_and_b64 s[62:63], s[58:59], s[62:63]             // in0 && in1
_v_add_lshl_u32 v13, v3, v4, 0x3                   // scaleToBpe: accumulate d0 lower and *= bpe into Cin addr
v_cndmask_b32 v13, -1, v13, s[62:63]               // LDD clip if OOB. offset
v_accvgpr_read_b32 v[vgprValuC+8], acc33 // copy acc to vreg[64]
v_accvgpr_read_b32 v[vgprValuC+9], acc129 // copy acc to vreg[65]
v_accvgpr_read_b32 v[vgprValuC+10], acc37 // copy acc to vreg[66]
v_accvgpr_read_b32 v[vgprValuC+11], acc133 // copy acc to vreg[67]
v_accvgpr_read_b32 v[vgprValuC+14], acc41 // copy acc to vreg[68]
v_accvgpr_read_b32 v[vgprValuC+15], acc137 // copy acc to vreg[69]
v_accvgpr_read_b32 v[vgprValuC+16], acc45 // copy acc to vreg[70]
v_accvgpr_read_b32 v[vgprValuC+17], acc141 // copy acc to vreg[71]
s_nop 1                                            // 2 wait states required before reading vgpr

/* rC *= alpha batchElements=[(1, 1, 1, 0), (1, 1, 1, 1), (1, 2, 1, 0), (1, 2, 1, 1)] */

/* apply mask, calc new C and issue writes */
_buffer_store_b64 v[8:9], v6, s[sgprSrdD:sgprSrdD+3], 0, offen, offset:0 // store D
_buffer_store_b64 v[10:11], v7, s[sgprSrdD:sgprSrdD+3], 0, offen, offset:0 // store D
	;; [unrolled: 1-line block ×4, first 2 shown]
s_nop 0                                            // 1 wait state required when next inst writes vgprs held by previous dwordx4 store inst
/* optSingleColVgpr=0 optSharedColVgpr=0 optSGPRUsage=BufferLoad_Edge_Mask optSrdIncForRow=0 */

/******************************************/
/* Global Write Alpha Edge Batch #9 (d1,d0,vc1,vc0) = */
/*    (1,0,2,0:vw1); (1,0,2,1:vw1); (1,1,2,0:vw1); (1,1,2,1:vw1) */
/******************************************/

/* calc coords, apply mask, and issue loads (if necessary) */
/* (d1,vc1,d0,vc0)=(1,2,0,0) */
_v_add_co_u32 v1, vcc, v1, 1                       // coord1.1: coord1Vgpr += d1*sg1*VW + vc1

/* Fix for UseInitialStridesCD, emitAddressSetupCode */
_v_add_u32 v2, v2, s[sgprStrideC1J]                // ROWINC- Move cinRowPtr to next row
_v_add_u32 v3, v3, s[sgprStrideD1J]                // Move coutRowPtr to next row
v_cmp_lt_u32 s[58:59], v0, s[sgprSizeI]            // coord0 < size0
v_cmp_lt_u32 s[62:63], v1, s[sgprSizeJ]            // coord1 < size1
s_and_b64 s[62:63], s[58:59], s[62:63]             // in0 && in1
_v_add_lshl_u32 v6, v3, v0, 0x3                    // scaleToBpe: accumulate d0 lower and *= bpe into Cin addr
v_cndmask_b32 v6, -1, v6, s[62:63]                 // LDD clip if OOB. offset
/* (d1,vc1,d0,vc0)=(1,2,0,1) */
_v_add_co_u32 v4, vcc, v0, 1                       // coord0.1: coord0 += d0*sg0*VW + vc0
v_cmp_lt_u32 s[58:59], v4, s[sgprSizeI]            // coord0 < size0
v_cmp_lt_u32 s[62:63], v1, s[sgprSizeJ]            // coord1 < size1
s_and_b64 s[62:63], s[58:59], s[62:63]             // in0 && in1
_v_add_lshl_u32 v7, v3, v4, 0x3                    // scaleToBpe: accumulate d0 lower and *= bpe into Cin addr
v_cndmask_b32 v7, -1, v7, s[62:63]                 // LDD clip if OOB. offset
/* (d1,vc1,d0,vc0)=(1,2,1,0) */
_v_add_co_u32 v4, vcc, v0, 32                      // coord0.1: coord0 += d0*sg0*VW + vc0
v_cmp_lt_u32 s[58:59], v4, s[sgprSizeI]            // coord0 < size0
v_cmp_lt_u32 s[62:63], v1, s[sgprSizeJ]            // coord1 < size1
s_and_b64 s[62:63], s[58:59], s[62:63]             // in0 && in1
_v_add_lshl_u32 v12, v3, v4, 0x3                   // scaleToBpe: accumulate d0 lower and *= bpe into Cin addr
v_cndmask_b32 v12, -1, v12, s[62:63]               // LDD clip if OOB. offset
/* (d1,vc1,d0,vc0)=(1,2,1,1) */
_v_add_co_u32 v4, vcc, v0, 33                      // coord0.1: coord0 += d0*sg0*VW + vc0
v_cmp_lt_u32 s[58:59], v4, s[sgprSizeI]            // coord0 < size0
v_cmp_lt_u32 s[62:63], v1, s[sgprSizeJ]            // coord1 < size1
s_and_b64 s[62:63], s[58:59], s[62:63]             // in0 && in1
_v_add_lshl_u32 v13, v3, v4, 0x3                   // scaleToBpe: accumulate d0 lower and *= bpe into Cin addr
v_cndmask_b32 v13, -1, v13, s[62:63]               // LDD clip if OOB. offset
v_accvgpr_read_b32 v[vgprValuC+8], acc26 // copy acc to vreg[72]
v_accvgpr_read_b32 v[vgprValuC+9], acc122 // copy acc to vreg[73]
v_accvgpr_read_b32 v[vgprValuC+10], acc30 // copy acc to vreg[74]
v_accvgpr_read_b32 v[vgprValuC+11], acc126 // copy acc to vreg[75]
v_accvgpr_read_b32 v[vgprValuC+14], acc34 // copy acc to vreg[76]
v_accvgpr_read_b32 v[vgprValuC+15], acc130 // copy acc to vreg[77]
v_accvgpr_read_b32 v[vgprValuC+16], acc38 // copy acc to vreg[78]
v_accvgpr_read_b32 v[vgprValuC+17], acc134 // copy acc to vreg[79]
s_nop 1                                            // 2 wait states required before reading vgpr

/* rC *= alpha batchElements=[(1, 0, 2, 0), (1, 0, 2, 1), (1, 1, 2, 0), (1, 1, 2, 1)] */

/* apply mask, calc new C and issue writes */
_buffer_store_b64 v[8:9], v6, s[sgprSrdD:sgprSrdD+3], 0, offen, offset:0 // store D
_buffer_store_b64 v[10:11], v7, s[sgprSrdD:sgprSrdD+3], 0, offen, offset:0 // store D
	;; [unrolled: 1-line block ×4, first 2 shown]
s_nop 0                                            // 1 wait state required when next inst writes vgprs held by previous dwordx4 store inst
/* optSingleColVgpr=0 optSharedColVgpr=0 optSGPRUsage=BufferLoad_Edge_Mask optSrdIncForRow=0 */

/******************************************/
/* Global Write Alpha Edge Batch #10 (d1,d0,vc1,vc0) = */
/*    (1,2,2,0:vw1); (1,2,2,1:vw1); (1,0,3,0:vw1); (1,0,3,1:vw1) */
/******************************************/

/* calc coords, apply mask, and issue loads (if necessary) */
/* (d1,vc1,d0,vc0)=(1,2,2,0) */
_v_add_co_u32 v4, vcc, v0, 64                      // coord0.1: coord0 += d0*sg0*VW + vc0
v_cmp_lt_u32 s[58:59], v4, s[sgprSizeI]            // coord0 < size0
v_cmp_lt_u32 s[62:63], v1, s[sgprSizeJ]            // coord1 < size1
s_and_b64 s[62:63], s[58:59], s[62:63]             // in0 && in1
_v_add_lshl_u32 v6, v3, v4, 0x3                    // scaleToBpe: accumulate d0 lower and *= bpe into Cin addr
v_cndmask_b32 v6, -1, v6, s[62:63]                 // LDD clip if OOB. offset
/* (d1,vc1,d0,vc0)=(1,2,2,1) */
s_mov_b32 s58, 65                                  // coordOffset0 d0=2 vc0=1
_v_add_co_u32 v4, vcc, v0, s58                     // coord0.2: coord0 += d0*sg0*VW + vc0
v_cmp_lt_u32 s[58:59], v4, s[sgprSizeI]            // coord0 < size0
v_cmp_lt_u32 s[62:63], v1, s[sgprSizeJ]            // coord1 < size1
s_and_b64 s[62:63], s[58:59], s[62:63]             // in0 && in1
_v_add_lshl_u32 v7, v3, v4, 0x3                    // scaleToBpe: accumulate d0 lower and *= bpe into Cin addr
v_cndmask_b32 v7, -1, v7, s[62:63]                 // LDD clip if OOB. offset
/* (d1,vc1,d0,vc0)=(1,3,0,0) */
_v_add_co_u32 v1, vcc, v1, 1                       // coord1.1: coord1Vgpr += d1*sg1*VW + vc1

/* Fix for UseInitialStridesCD, emitAddressSetupCode */
_v_add_u32 v2, v2, s[sgprStrideC1J]                // ROWINC- Move cinRowPtr to next row
_v_add_u32 v3, v3, s[sgprStrideD1J]                // Move coutRowPtr to next row
v_cmp_lt_u32 s[58:59], v0, s[sgprSizeI]            // coord0 < size0
v_cmp_lt_u32 s[62:63], v1, s[sgprSizeJ]            // coord1 < size1
s_and_b64 s[62:63], s[58:59], s[62:63]             // in0 && in1
_v_add_lshl_u32 v12, v3, v0, 0x3                   // scaleToBpe: accumulate d0 lower and *= bpe into Cin addr
v_cndmask_b32 v12, -1, v12, s[62:63]               // LDD clip if OOB. offset
/* (d1,vc1,d0,vc0)=(1,3,0,1) */
_v_add_co_u32 v4, vcc, v0, 1                       // coord0.1: coord0 += d0*sg0*VW + vc0
v_cmp_lt_u32 s[58:59], v4, s[sgprSizeI]            // coord0 < size0
v_cmp_lt_u32 s[62:63], v1, s[sgprSizeJ]            // coord1 < size1
s_and_b64 s[62:63], s[58:59], s[62:63]             // in0 && in1
_v_add_lshl_u32 v13, v3, v4, 0x3                   // scaleToBpe: accumulate d0 lower and *= bpe into Cin addr
v_cndmask_b32 v13, -1, v13, s[62:63]               // LDD clip if OOB. offset
v_accvgpr_read_b32 v[vgprValuC+8], acc42 // copy acc to vreg[80]
v_accvgpr_read_b32 v[vgprValuC+9], acc138 // copy acc to vreg[81]
v_accvgpr_read_b32 v[vgprValuC+10], acc46 // copy acc to vreg[82]
v_accvgpr_read_b32 v[vgprValuC+11], acc142 // copy acc to vreg[83]
v_accvgpr_read_b32 v[vgprValuC+14], acc27 // copy acc to vreg[84]
v_accvgpr_read_b32 v[vgprValuC+15], acc123 // copy acc to vreg[85]
v_accvgpr_read_b32 v[vgprValuC+16], acc31 // copy acc to vreg[86]
v_accvgpr_read_b32 v[vgprValuC+17], acc127 // copy acc to vreg[87]
s_nop 1                                            // 2 wait states required before reading vgpr

/* rC *= alpha batchElements=[(1, 2, 2, 0), (1, 2, 2, 1), (1, 0, 3, 0), (1, 0, 3, 1)] */

/* apply mask, calc new C and issue writes */
_buffer_store_b64 v[8:9], v6, s[sgprSrdD:sgprSrdD+3], 0, offen, offset:0 // store D
_buffer_store_b64 v[10:11], v7, s[sgprSrdD:sgprSrdD+3], 0, offen, offset:0 // store D
	;; [unrolled: 1-line block ×4, first 2 shown]
s_nop 0                                            // 1 wait state required when next inst writes vgprs held by previous dwordx4 store inst
/* optSingleColVgpr=0 optSharedColVgpr=0 optSGPRUsage=BufferLoad_Edge_Mask optSrdIncForRow=0 */

/******************************************/
/* Global Write Alpha Edge Batch #11 (d1,d0,vc1,vc0) = */
/*    (1,1,3,0:vw1); (1,1,3,1:vw1); (1,2,3,0:vw1); (1,2,3,1:vw1) */
/******************************************/

/* calc coords, apply mask, and issue loads (if necessary) */
/* (d1,vc1,d0,vc0)=(1,3,1,0) */
_v_add_co_u32 v4, vcc, v0, 32                      // coord0.1: coord0 += d0*sg0*VW + vc0
v_cmp_lt_u32 s[58:59], v4, s[sgprSizeI]            // coord0 < size0
v_cmp_lt_u32 s[62:63], v1, s[sgprSizeJ]            // coord1 < size1
s_and_b64 s[62:63], s[58:59], s[62:63]             // in0 && in1
_v_add_lshl_u32 v6, v3, v4, 0x3                    // scaleToBpe: accumulate d0 lower and *= bpe into Cin addr
v_cndmask_b32 v6, -1, v6, s[62:63]                 // LDD clip if OOB. offset
/* (d1,vc1,d0,vc0)=(1,3,1,1) */
_v_add_co_u32 v4, vcc, v0, 33                      // coord0.1: coord0 += d0*sg0*VW + vc0
v_cmp_lt_u32 s[58:59], v4, s[sgprSizeI]            // coord0 < size0
v_cmp_lt_u32 s[62:63], v1, s[sgprSizeJ]            // coord1 < size1
s_and_b64 s[62:63], s[58:59], s[62:63]             // in0 && in1
_v_add_lshl_u32 v7, v3, v4, 0x3                    // scaleToBpe: accumulate d0 lower and *= bpe into Cin addr
v_cndmask_b32 v7, -1, v7, s[62:63]                 // LDD clip if OOB. offset
/* (d1,vc1,d0,vc0)=(1,3,2,0) */
_v_add_co_u32 v4, vcc, v0, 64                      // coord0.1: coord0 += d0*sg0*VW + vc0
v_cmp_lt_u32 s[58:59], v4, s[sgprSizeI]            // coord0 < size0
v_cmp_lt_u32 s[62:63], v1, s[sgprSizeJ]            // coord1 < size1
s_and_b64 s[62:63], s[58:59], s[62:63]             // in0 && in1
_v_add_lshl_u32 v12, v3, v4, 0x3                   // scaleToBpe: accumulate d0 lower and *= bpe into Cin addr
v_cndmask_b32 v12, -1, v12, s[62:63]               // LDD clip if OOB. offset
/* (d1,vc1,d0,vc0)=(1,3,2,1) */
s_mov_b32 s58, 65                                  // coordOffset0 d0=2 vc0=1
_v_add_co_u32 v4, vcc, v0, s58                     // coord0.2: coord0 += d0*sg0*VW + vc0
v_cmp_lt_u32 s[58:59], v4, s[sgprSizeI]            // coord0 < size0
v_cmp_lt_u32 s[62:63], v1, s[sgprSizeJ]            // coord1 < size1
s_and_b64 s[62:63], s[58:59], s[62:63]             // in0 && in1
_v_add_lshl_u32 v13, v3, v4, 0x3                   // scaleToBpe: accumulate d0 lower and *= bpe into Cin addr
v_cndmask_b32 v13, -1, v13, s[62:63]               // LDD clip if OOB. offset
v_accvgpr_read_b32 v[vgprValuC+8], acc35 // copy acc to vreg[88]
v_accvgpr_read_b32 v[vgprValuC+9], acc131 // copy acc to vreg[89]
v_accvgpr_read_b32 v[vgprValuC+10], acc39 // copy acc to vreg[90]
v_accvgpr_read_b32 v[vgprValuC+11], acc135 // copy acc to vreg[91]
v_accvgpr_read_b32 v[vgprValuC+14], acc43 // copy acc to vreg[92]
v_accvgpr_read_b32 v[vgprValuC+15], acc139 // copy acc to vreg[93]
v_accvgpr_read_b32 v[vgprValuC+16], acc47 // copy acc to vreg[94]
v_accvgpr_read_b32 v[vgprValuC+17], acc143 // copy acc to vreg[95]
s_nop 1                                            // 2 wait states required before reading vgpr

/* rC *= alpha batchElements=[(1, 1, 3, 0), (1, 1, 3, 1), (1, 2, 3, 0), (1, 2, 3, 1)] */

/* apply mask, calc new C and issue writes */
_buffer_store_b64 v[8:9], v6, s[sgprSrdD:sgprSrdD+3], 0, offen, offset:0 // store D
_buffer_store_b64 v[10:11], v7, s[sgprSrdD:sgprSrdD+3], 0, offen, offset:0 // store D
	;; [unrolled: 1-line block ×4, first 2 shown]
s_nop 0                                            // 1 wait state required when next inst writes vgprs held by previous dwordx4 store inst
/* optSingleColVgpr=0 optSharedColVgpr=0 optSGPRUsage=BufferLoad_Edge_Mask optSrdIncForRow=0 */

/******************************************/
/* Global Write Alpha Edge Batch #12 (d1,d0,vc1,vc0) = */
/*    (2,0,0,0:vw1); (2,0,0,1:vw1); (2,1,0,0:vw1); (2,1,0,1:vw1) */
/******************************************/

/* calc coords, apply mask, and issue loads (if necessary) */
/* (d1,vc1,d0,vc0)=(2,0,0,0) */
_v_add_co_u32 v1, vcc, v1, 61                      // coord1.1: coord1Vgpr += d1*sg1*VW + vc1

/* Fix for UseInitialStridesCD, emitAddressSetupCode */
s_mul_i32 s58, s[sgprStrideC1J], 61                // scale stride
_v_add_u32 v2, v2, s58                             // ROWINC- Move cinRowPtr to next row
s_mul_i32 s58, s[sgprStrideD1J], 61                // scale stride
_v_add_u32 v3, v3, s58                             // Move coutRowPtr to next row
v_cmp_lt_u32 s[58:59], v0, s[sgprSizeI]            // coord0 < size0
v_cmp_lt_u32 s[62:63], v1, s[sgprSizeJ]            // coord1 < size1
s_and_b64 s[62:63], s[58:59], s[62:63]             // in0 && in1
_v_add_lshl_u32 v6, v3, v0, 0x3                    // scaleToBpe: accumulate d0 lower and *= bpe into Cin addr
v_cndmask_b32 v6, -1, v6, s[62:63]                 // LDD clip if OOB. offset
/* (d1,vc1,d0,vc0)=(2,0,0,1) */
_v_add_co_u32 v4, vcc, v0, 1                       // coord0.1: coord0 += d0*sg0*VW + vc0
v_cmp_lt_u32 s[58:59], v4, s[sgprSizeI]            // coord0 < size0
v_cmp_lt_u32 s[62:63], v1, s[sgprSizeJ]            // coord1 < size1
s_and_b64 s[62:63], s[58:59], s[62:63]             // in0 && in1
_v_add_lshl_u32 v7, v3, v4, 0x3                    // scaleToBpe: accumulate d0 lower and *= bpe into Cin addr
v_cndmask_b32 v7, -1, v7, s[62:63]                 // LDD clip if OOB. offset
/* (d1,vc1,d0,vc0)=(2,0,1,0) */
_v_add_co_u32 v4, vcc, v0, 32                      // coord0.1: coord0 += d0*sg0*VW + vc0
v_cmp_lt_u32 s[58:59], v4, s[sgprSizeI]            // coord0 < size0
v_cmp_lt_u32 s[62:63], v1, s[sgprSizeJ]            // coord1 < size1
s_and_b64 s[62:63], s[58:59], s[62:63]             // in0 && in1
_v_add_lshl_u32 v12, v3, v4, 0x3                   // scaleToBpe: accumulate d0 lower and *= bpe into Cin addr
v_cndmask_b32 v12, -1, v12, s[62:63]               // LDD clip if OOB. offset
/* (d1,vc1,d0,vc0)=(2,0,1,1) */
_v_add_co_u32 v4, vcc, v0, 33                      // coord0.1: coord0 += d0*sg0*VW + vc0
v_cmp_lt_u32 s[58:59], v4, s[sgprSizeI]            // coord0 < size0
v_cmp_lt_u32 s[62:63], v1, s[sgprSizeJ]            // coord1 < size1
s_and_b64 s[62:63], s[58:59], s[62:63]             // in0 && in1
_v_add_lshl_u32 v13, v3, v4, 0x3                   // scaleToBpe: accumulate d0 lower and *= bpe into Cin addr
v_cndmask_b32 v13, -1, v13, s[62:63]               // LDD clip if OOB. offset
v_accvgpr_read_b32 v[vgprValuC+8], acc48 // copy acc to vreg[96]
v_accvgpr_read_b32 v[vgprValuC+9], acc144 // copy acc to vreg[97]
v_accvgpr_read_b32 v[vgprValuC+10], acc52 // copy acc to vreg[98]
v_accvgpr_read_b32 v[vgprValuC+11], acc148 // copy acc to vreg[99]
v_accvgpr_read_b32 v[vgprValuC+14], acc56 // copy acc to vreg[100]
v_accvgpr_read_b32 v[vgprValuC+15], acc152 // copy acc to vreg[101]
v_accvgpr_read_b32 v[vgprValuC+16], acc60 // copy acc to vreg[102]
v_accvgpr_read_b32 v[vgprValuC+17], acc156 // copy acc to vreg[103]
s_nop 1                                            // 2 wait states required before reading vgpr

/* rC *= alpha batchElements=[(2, 0, 0, 0), (2, 0, 0, 1), (2, 1, 0, 0), (2, 1, 0, 1)] */

/* apply mask, calc new C and issue writes */
_buffer_store_b64 v[8:9], v6, s[sgprSrdD:sgprSrdD+3], 0, offen, offset:0 // store D
_buffer_store_b64 v[10:11], v7, s[sgprSrdD:sgprSrdD+3], 0, offen, offset:0 // store D
	;; [unrolled: 1-line block ×4, first 2 shown]
s_nop 0                                            // 1 wait state required when next inst writes vgprs held by previous dwordx4 store inst
/* optSingleColVgpr=0 optSharedColVgpr=0 optSGPRUsage=BufferLoad_Edge_Mask optSrdIncForRow=0 */

/******************************************/
/* Global Write Alpha Edge Batch #13 (d1,d0,vc1,vc0) = */
/*    (2,2,0,0:vw1); (2,2,0,1:vw1); (2,0,1,0:vw1); (2,0,1,1:vw1) */
/******************************************/

/* calc coords, apply mask, and issue loads (if necessary) */
/* (d1,vc1,d0,vc0)=(2,0,2,0) */
_v_add_co_u32 v4, vcc, v0, 64                      // coord0.1: coord0 += d0*sg0*VW + vc0
v_cmp_lt_u32 s[58:59], v4, s[sgprSizeI]            // coord0 < size0
v_cmp_lt_u32 s[62:63], v1, s[sgprSizeJ]            // coord1 < size1
s_and_b64 s[62:63], s[58:59], s[62:63]             // in0 && in1
_v_add_lshl_u32 v6, v3, v4, 0x3                    // scaleToBpe: accumulate d0 lower and *= bpe into Cin addr
v_cndmask_b32 v6, -1, v6, s[62:63]                 // LDD clip if OOB. offset
/* (d1,vc1,d0,vc0)=(2,0,2,1) */
s_mov_b32 s58, 65                                  // coordOffset0 d0=2 vc0=1
_v_add_co_u32 v4, vcc, v0, s58                     // coord0.2: coord0 += d0*sg0*VW + vc0
v_cmp_lt_u32 s[58:59], v4, s[sgprSizeI]            // coord0 < size0
v_cmp_lt_u32 s[62:63], v1, s[sgprSizeJ]            // coord1 < size1
s_and_b64 s[62:63], s[58:59], s[62:63]             // in0 && in1
_v_add_lshl_u32 v7, v3, v4, 0x3                    // scaleToBpe: accumulate d0 lower and *= bpe into Cin addr
v_cndmask_b32 v7, -1, v7, s[62:63]                 // LDD clip if OOB. offset
/* (d1,vc1,d0,vc0)=(2,1,0,0) */
_v_add_co_u32 v1, vcc, v1, 1                       // coord1.1: coord1Vgpr += d1*sg1*VW + vc1

/* Fix for UseInitialStridesCD, emitAddressSetupCode */
_v_add_u32 v2, v2, s[sgprStrideC1J]                // ROWINC- Move cinRowPtr to next row
_v_add_u32 v3, v3, s[sgprStrideD1J]                // Move coutRowPtr to next row
v_cmp_lt_u32 s[58:59], v0, s[sgprSizeI]            // coord0 < size0
v_cmp_lt_u32 s[62:63], v1, s[sgprSizeJ]            // coord1 < size1
s_and_b64 s[62:63], s[58:59], s[62:63]             // in0 && in1
_v_add_lshl_u32 v12, v3, v0, 0x3                   // scaleToBpe: accumulate d0 lower and *= bpe into Cin addr
v_cndmask_b32 v12, -1, v12, s[62:63]               // LDD clip if OOB. offset
/* (d1,vc1,d0,vc0)=(2,1,0,1) */
_v_add_co_u32 v4, vcc, v0, 1                       // coord0.1: coord0 += d0*sg0*VW + vc0
v_cmp_lt_u32 s[58:59], v4, s[sgprSizeI]            // coord0 < size0
v_cmp_lt_u32 s[62:63], v1, s[sgprSizeJ]            // coord1 < size1
s_and_b64 s[62:63], s[58:59], s[62:63]             // in0 && in1
_v_add_lshl_u32 v13, v3, v4, 0x3                   // scaleToBpe: accumulate d0 lower and *= bpe into Cin addr
v_cndmask_b32 v13, -1, v13, s[62:63]               // LDD clip if OOB. offset
v_accvgpr_read_b32 v[vgprValuC+8], acc64 // copy acc to vreg[104]
v_accvgpr_read_b32 v[vgprValuC+9], acc160 // copy acc to vreg[105]
v_accvgpr_read_b32 v[vgprValuC+10], acc68 // copy acc to vreg[106]
v_accvgpr_read_b32 v[vgprValuC+11], acc164 // copy acc to vreg[107]
v_accvgpr_read_b32 v[vgprValuC+14], acc49 // copy acc to vreg[108]
v_accvgpr_read_b32 v[vgprValuC+15], acc145 // copy acc to vreg[109]
v_accvgpr_read_b32 v[vgprValuC+16], acc53 // copy acc to vreg[110]
v_accvgpr_read_b32 v[vgprValuC+17], acc149 // copy acc to vreg[111]
s_nop 1                                            // 2 wait states required before reading vgpr

/* rC *= alpha batchElements=[(2, 2, 0, 0), (2, 2, 0, 1), (2, 0, 1, 0), (2, 0, 1, 1)] */

/* apply mask, calc new C and issue writes */
_buffer_store_b64 v[8:9], v6, s[sgprSrdD:sgprSrdD+3], 0, offen, offset:0 // store D
_buffer_store_b64 v[10:11], v7, s[sgprSrdD:sgprSrdD+3], 0, offen, offset:0 // store D
	;; [unrolled: 1-line block ×4, first 2 shown]
s_nop 0                                            // 1 wait state required when next inst writes vgprs held by previous dwordx4 store inst
/* optSingleColVgpr=0 optSharedColVgpr=0 optSGPRUsage=BufferLoad_Edge_Mask optSrdIncForRow=0 */

/******************************************/
/* Global Write Alpha Edge Batch #14 (d1,d0,vc1,vc0) = */
/*    (2,1,1,0:vw1); (2,1,1,1:vw1); (2,2,1,0:vw1); (2,2,1,1:vw1) */
/******************************************/

/* calc coords, apply mask, and issue loads (if necessary) */
/* (d1,vc1,d0,vc0)=(2,1,1,0) */
_v_add_co_u32 v4, vcc, v0, 32                      // coord0.1: coord0 += d0*sg0*VW + vc0
v_cmp_lt_u32 s[58:59], v4, s[sgprSizeI]            // coord0 < size0
v_cmp_lt_u32 s[62:63], v1, s[sgprSizeJ]            // coord1 < size1
s_and_b64 s[62:63], s[58:59], s[62:63]             // in0 && in1
_v_add_lshl_u32 v6, v3, v4, 0x3                    // scaleToBpe: accumulate d0 lower and *= bpe into Cin addr
v_cndmask_b32 v6, -1, v6, s[62:63]                 // LDD clip if OOB. offset
/* (d1,vc1,d0,vc0)=(2,1,1,1) */
_v_add_co_u32 v4, vcc, v0, 33                      // coord0.1: coord0 += d0*sg0*VW + vc0
v_cmp_lt_u32 s[58:59], v4, s[sgprSizeI]            // coord0 < size0
v_cmp_lt_u32 s[62:63], v1, s[sgprSizeJ]            // coord1 < size1
s_and_b64 s[62:63], s[58:59], s[62:63]             // in0 && in1
_v_add_lshl_u32 v7, v3, v4, 0x3                    // scaleToBpe: accumulate d0 lower and *= bpe into Cin addr
v_cndmask_b32 v7, -1, v7, s[62:63]                 // LDD clip if OOB. offset
/* (d1,vc1,d0,vc0)=(2,1,2,0) */
_v_add_co_u32 v4, vcc, v0, 64                      // coord0.1: coord0 += d0*sg0*VW + vc0
v_cmp_lt_u32 s[58:59], v4, s[sgprSizeI]            // coord0 < size0
v_cmp_lt_u32 s[62:63], v1, s[sgprSizeJ]            // coord1 < size1
s_and_b64 s[62:63], s[58:59], s[62:63]             // in0 && in1
_v_add_lshl_u32 v12, v3, v4, 0x3                   // scaleToBpe: accumulate d0 lower and *= bpe into Cin addr
v_cndmask_b32 v12, -1, v12, s[62:63]               // LDD clip if OOB. offset
/* (d1,vc1,d0,vc0)=(2,1,2,1) */
s_mov_b32 s58, 65                                  // coordOffset0 d0=2 vc0=1
_v_add_co_u32 v4, vcc, v0, s58                     // coord0.2: coord0 += d0*sg0*VW + vc0
v_cmp_lt_u32 s[58:59], v4, s[sgprSizeI]            // coord0 < size0
v_cmp_lt_u32 s[62:63], v1, s[sgprSizeJ]            // coord1 < size1
s_and_b64 s[62:63], s[58:59], s[62:63]             // in0 && in1
_v_add_lshl_u32 v13, v3, v4, 0x3                   // scaleToBpe: accumulate d0 lower and *= bpe into Cin addr
v_cndmask_b32 v13, -1, v13, s[62:63]               // LDD clip if OOB. offset
v_accvgpr_read_b32 v[vgprValuC+8], acc57 // copy acc to vreg[112]
v_accvgpr_read_b32 v[vgprValuC+9], acc153 // copy acc to vreg[113]
v_accvgpr_read_b32 v[vgprValuC+10], acc61 // copy acc to vreg[114]
v_accvgpr_read_b32 v[vgprValuC+11], acc157 // copy acc to vreg[115]
v_accvgpr_read_b32 v[vgprValuC+14], acc65 // copy acc to vreg[116]
v_accvgpr_read_b32 v[vgprValuC+15], acc161 // copy acc to vreg[117]
v_accvgpr_read_b32 v[vgprValuC+16], acc69 // copy acc to vreg[118]
v_accvgpr_read_b32 v[vgprValuC+17], acc165 // copy acc to vreg[119]
s_nop 1                                            // 2 wait states required before reading vgpr

/* rC *= alpha batchElements=[(2, 1, 1, 0), (2, 1, 1, 1), (2, 2, 1, 0), (2, 2, 1, 1)] */

/* apply mask, calc new C and issue writes */
_buffer_store_b64 v[8:9], v6, s[sgprSrdD:sgprSrdD+3], 0, offen, offset:0 // store D
_buffer_store_b64 v[10:11], v7, s[sgprSrdD:sgprSrdD+3], 0, offen, offset:0 // store D
	;; [unrolled: 1-line block ×4, first 2 shown]
s_nop 0                                            // 1 wait state required when next inst writes vgprs held by previous dwordx4 store inst
/* optSingleColVgpr=0 optSharedColVgpr=0 optSGPRUsage=BufferLoad_Edge_Mask optSrdIncForRow=0 */

/******************************************/
/* Global Write Alpha Edge Batch #15 (d1,d0,vc1,vc0) = */
/*    (2,0,2,0:vw1); (2,0,2,1:vw1); (2,1,2,0:vw1); (2,1,2,1:vw1) */
/******************************************/

/* calc coords, apply mask, and issue loads (if necessary) */
/* (d1,vc1,d0,vc0)=(2,2,0,0) */
_v_add_co_u32 v1, vcc, v1, 1                       // coord1.1: coord1Vgpr += d1*sg1*VW + vc1

/* Fix for UseInitialStridesCD, emitAddressSetupCode */
_v_add_u32 v2, v2, s[sgprStrideC1J]                // ROWINC- Move cinRowPtr to next row
_v_add_u32 v3, v3, s[sgprStrideD1J]                // Move coutRowPtr to next row
v_cmp_lt_u32 s[58:59], v0, s[sgprSizeI]            // coord0 < size0
v_cmp_lt_u32 s[62:63], v1, s[sgprSizeJ]            // coord1 < size1
s_and_b64 s[62:63], s[58:59], s[62:63]             // in0 && in1
_v_add_lshl_u32 v6, v3, v0, 0x3                    // scaleToBpe: accumulate d0 lower and *= bpe into Cin addr
v_cndmask_b32 v6, -1, v6, s[62:63]                 // LDD clip if OOB. offset
/* (d1,vc1,d0,vc0)=(2,2,0,1) */
_v_add_co_u32 v4, vcc, v0, 1                       // coord0.1: coord0 += d0*sg0*VW + vc0
v_cmp_lt_u32 s[58:59], v4, s[sgprSizeI]            // coord0 < size0
v_cmp_lt_u32 s[62:63], v1, s[sgprSizeJ]            // coord1 < size1
s_and_b64 s[62:63], s[58:59], s[62:63]             // in0 && in1
_v_add_lshl_u32 v7, v3, v4, 0x3                    // scaleToBpe: accumulate d0 lower and *= bpe into Cin addr
v_cndmask_b32 v7, -1, v7, s[62:63]                 // LDD clip if OOB. offset
/* (d1,vc1,d0,vc0)=(2,2,1,0) */
_v_add_co_u32 v4, vcc, v0, 32                      // coord0.1: coord0 += d0*sg0*VW + vc0
v_cmp_lt_u32 s[58:59], v4, s[sgprSizeI]            // coord0 < size0
v_cmp_lt_u32 s[62:63], v1, s[sgprSizeJ]            // coord1 < size1
s_and_b64 s[62:63], s[58:59], s[62:63]             // in0 && in1
_v_add_lshl_u32 v12, v3, v4, 0x3                   // scaleToBpe: accumulate d0 lower and *= bpe into Cin addr
v_cndmask_b32 v12, -1, v12, s[62:63]               // LDD clip if OOB. offset
/* (d1,vc1,d0,vc0)=(2,2,1,1) */
_v_add_co_u32 v4, vcc, v0, 33                      // coord0.1: coord0 += d0*sg0*VW + vc0
v_cmp_lt_u32 s[58:59], v4, s[sgprSizeI]            // coord0 < size0
v_cmp_lt_u32 s[62:63], v1, s[sgprSizeJ]            // coord1 < size1
s_and_b64 s[62:63], s[58:59], s[62:63]             // in0 && in1
_v_add_lshl_u32 v13, v3, v4, 0x3                   // scaleToBpe: accumulate d0 lower and *= bpe into Cin addr
v_cndmask_b32 v13, -1, v13, s[62:63]               // LDD clip if OOB. offset
v_accvgpr_read_b32 v[vgprValuC+8], acc50 // copy acc to vreg[120]
v_accvgpr_read_b32 v[vgprValuC+9], acc146 // copy acc to vreg[121]
v_accvgpr_read_b32 v[vgprValuC+10], acc54 // copy acc to vreg[122]
v_accvgpr_read_b32 v[vgprValuC+11], acc150 // copy acc to vreg[123]
v_accvgpr_read_b32 v[vgprValuC+14], acc58 // copy acc to vreg[124]
v_accvgpr_read_b32 v[vgprValuC+15], acc154 // copy acc to vreg[125]
v_accvgpr_read_b32 v[vgprValuC+16], acc62 // copy acc to vreg[126]
v_accvgpr_read_b32 v[vgprValuC+17], acc158 // copy acc to vreg[127]
s_nop 1                                            // 2 wait states required before reading vgpr

/* rC *= alpha batchElements=[(2, 0, 2, 0), (2, 0, 2, 1), (2, 1, 2, 0), (2, 1, 2, 1)] */

/* apply mask, calc new C and issue writes */
_buffer_store_b64 v[8:9], v6, s[sgprSrdD:sgprSrdD+3], 0, offen, offset:0 // store D
_buffer_store_b64 v[10:11], v7, s[sgprSrdD:sgprSrdD+3], 0, offen, offset:0 // store D
	;; [unrolled: 1-line block ×4, first 2 shown]
s_nop 0                                            // 1 wait state required when next inst writes vgprs held by previous dwordx4 store inst
/* optSingleColVgpr=0 optSharedColVgpr=0 optSGPRUsage=BufferLoad_Edge_Mask optSrdIncForRow=0 */

/******************************************/
/* Global Write Alpha Edge Batch #16 (d1,d0,vc1,vc0) = */
/*    (2,2,2,0:vw1); (2,2,2,1:vw1); (2,0,3,0:vw1); (2,0,3,1:vw1) */
/******************************************/

/* calc coords, apply mask, and issue loads (if necessary) */
/* (d1,vc1,d0,vc0)=(2,2,2,0) */
_v_add_co_u32 v4, vcc, v0, 64                      // coord0.1: coord0 += d0*sg0*VW + vc0
v_cmp_lt_u32 s[58:59], v4, s[sgprSizeI]            // coord0 < size0
v_cmp_lt_u32 s[62:63], v1, s[sgprSizeJ]            // coord1 < size1
s_and_b64 s[62:63], s[58:59], s[62:63]             // in0 && in1
_v_add_lshl_u32 v6, v3, v4, 0x3                    // scaleToBpe: accumulate d0 lower and *= bpe into Cin addr
v_cndmask_b32 v6, -1, v6, s[62:63]                 // LDD clip if OOB. offset
/* (d1,vc1,d0,vc0)=(2,2,2,1) */
s_mov_b32 s58, 65                                  // coordOffset0 d0=2 vc0=1
_v_add_co_u32 v4, vcc, v0, s58                     // coord0.2: coord0 += d0*sg0*VW + vc0
v_cmp_lt_u32 s[58:59], v4, s[sgprSizeI]            // coord0 < size0
v_cmp_lt_u32 s[62:63], v1, s[sgprSizeJ]            // coord1 < size1
s_and_b64 s[62:63], s[58:59], s[62:63]             // in0 && in1
_v_add_lshl_u32 v7, v3, v4, 0x3                    // scaleToBpe: accumulate d0 lower and *= bpe into Cin addr
v_cndmask_b32 v7, -1, v7, s[62:63]                 // LDD clip if OOB. offset
/* (d1,vc1,d0,vc0)=(2,3,0,0) */
_v_add_co_u32 v1, vcc, v1, 1                       // coord1.1: coord1Vgpr += d1*sg1*VW + vc1

/* Fix for UseInitialStridesCD, emitAddressSetupCode */
_v_add_u32 v2, v2, s[sgprStrideC1J]                // ROWINC- Move cinRowPtr to next row
_v_add_u32 v3, v3, s[sgprStrideD1J]                // Move coutRowPtr to next row
v_cmp_lt_u32 s[58:59], v0, s[sgprSizeI]            // coord0 < size0
v_cmp_lt_u32 s[62:63], v1, s[sgprSizeJ]            // coord1 < size1
s_and_b64 s[62:63], s[58:59], s[62:63]             // in0 && in1
_v_add_lshl_u32 v12, v3, v0, 0x3                   // scaleToBpe: accumulate d0 lower and *= bpe into Cin addr
v_cndmask_b32 v12, -1, v12, s[62:63]               // LDD clip if OOB. offset
/* (d1,vc1,d0,vc0)=(2,3,0,1) */
_v_add_co_u32 v4, vcc, v0, 1                       // coord0.1: coord0 += d0*sg0*VW + vc0
v_cmp_lt_u32 s[58:59], v4, s[sgprSizeI]            // coord0 < size0
v_cmp_lt_u32 s[62:63], v1, s[sgprSizeJ]            // coord1 < size1
s_and_b64 s[62:63], s[58:59], s[62:63]             // in0 && in1
_v_add_lshl_u32 v13, v3, v4, 0x3                   // scaleToBpe: accumulate d0 lower and *= bpe into Cin addr
v_cndmask_b32 v13, -1, v13, s[62:63]               // LDD clip if OOB. offset
v_accvgpr_read_b32 v[vgprValuC+8], acc66 // copy acc to vreg[128]
v_accvgpr_read_b32 v[vgprValuC+9], acc162 // copy acc to vreg[129]
v_accvgpr_read_b32 v[vgprValuC+10], acc70 // copy acc to vreg[130]
v_accvgpr_read_b32 v[vgprValuC+11], acc166 // copy acc to vreg[131]
v_accvgpr_read_b32 v[vgprValuC+14], acc51 // copy acc to vreg[132]
v_accvgpr_read_b32 v[vgprValuC+15], acc147 // copy acc to vreg[133]
v_accvgpr_read_b32 v[vgprValuC+16], acc55 // copy acc to vreg[134]
v_accvgpr_read_b32 v[vgprValuC+17], acc151 // copy acc to vreg[135]
s_nop 1                                            // 2 wait states required before reading vgpr

/* rC *= alpha batchElements=[(2, 2, 2, 0), (2, 2, 2, 1), (2, 0, 3, 0), (2, 0, 3, 1)] */

/* apply mask, calc new C and issue writes */
_buffer_store_b64 v[8:9], v6, s[sgprSrdD:sgprSrdD+3], 0, offen, offset:0 // store D
_buffer_store_b64 v[10:11], v7, s[sgprSrdD:sgprSrdD+3], 0, offen, offset:0 // store D
	;; [unrolled: 1-line block ×4, first 2 shown]
s_nop 0                                            // 1 wait state required when next inst writes vgprs held by previous dwordx4 store inst
/* optSingleColVgpr=0 optSharedColVgpr=0 optSGPRUsage=BufferLoad_Edge_Mask optSrdIncForRow=0 */

/******************************************/
/* Global Write Alpha Edge Batch #17 (d1,d0,vc1,vc0) = */
/*    (2,1,3,0:vw1); (2,1,3,1:vw1); (2,2,3,0:vw1); (2,2,3,1:vw1) */
/******************************************/

/* calc coords, apply mask, and issue loads (if necessary) */
/* (d1,vc1,d0,vc0)=(2,3,1,0) */
_v_add_co_u32 v4, vcc, v0, 32                      // coord0.1: coord0 += d0*sg0*VW + vc0
v_cmp_lt_u32 s[58:59], v4, s[sgprSizeI]            // coord0 < size0
v_cmp_lt_u32 s[62:63], v1, s[sgprSizeJ]            // coord1 < size1
s_and_b64 s[62:63], s[58:59], s[62:63]             // in0 && in1
_v_add_lshl_u32 v6, v3, v4, 0x3                    // scaleToBpe: accumulate d0 lower and *= bpe into Cin addr
v_cndmask_b32 v6, -1, v6, s[62:63]                 // LDD clip if OOB. offset
/* (d1,vc1,d0,vc0)=(2,3,1,1) */
_v_add_co_u32 v4, vcc, v0, 33                      // coord0.1: coord0 += d0*sg0*VW + vc0
v_cmp_lt_u32 s[58:59], v4, s[sgprSizeI]            // coord0 < size0
v_cmp_lt_u32 s[62:63], v1, s[sgprSizeJ]            // coord1 < size1
s_and_b64 s[62:63], s[58:59], s[62:63]             // in0 && in1
_v_add_lshl_u32 v7, v3, v4, 0x3                    // scaleToBpe: accumulate d0 lower and *= bpe into Cin addr
v_cndmask_b32 v7, -1, v7, s[62:63]                 // LDD clip if OOB. offset
/* (d1,vc1,d0,vc0)=(2,3,2,0) */
_v_add_co_u32 v4, vcc, v0, 64                      // coord0.1: coord0 += d0*sg0*VW + vc0
v_cmp_lt_u32 s[58:59], v4, s[sgprSizeI]            // coord0 < size0
v_cmp_lt_u32 s[62:63], v1, s[sgprSizeJ]            // coord1 < size1
s_and_b64 s[62:63], s[58:59], s[62:63]             // in0 && in1
_v_add_lshl_u32 v12, v3, v4, 0x3                   // scaleToBpe: accumulate d0 lower and *= bpe into Cin addr
v_cndmask_b32 v12, -1, v12, s[62:63]               // LDD clip if OOB. offset
/* (d1,vc1,d0,vc0)=(2,3,2,1) */
s_mov_b32 s58, 65                                  // coordOffset0 d0=2 vc0=1
_v_add_co_u32 v4, vcc, v0, s58                     // coord0.2: coord0 += d0*sg0*VW + vc0
v_cmp_lt_u32 s[58:59], v4, s[sgprSizeI]            // coord0 < size0
v_cmp_lt_u32 s[62:63], v1, s[sgprSizeJ]            // coord1 < size1
s_and_b64 s[62:63], s[58:59], s[62:63]             // in0 && in1
_v_add_lshl_u32 v13, v3, v4, 0x3                   // scaleToBpe: accumulate d0 lower and *= bpe into Cin addr
v_cndmask_b32 v13, -1, v13, s[62:63]               // LDD clip if OOB. offset
v_accvgpr_read_b32 v[vgprValuC+8], acc59 // copy acc to vreg[136]
v_accvgpr_read_b32 v[vgprValuC+9], acc155 // copy acc to vreg[137]
v_accvgpr_read_b32 v[vgprValuC+10], acc63 // copy acc to vreg[138]
v_accvgpr_read_b32 v[vgprValuC+11], acc159 // copy acc to vreg[139]
v_accvgpr_read_b32 v[vgprValuC+14], acc67 // copy acc to vreg[140]
v_accvgpr_read_b32 v[vgprValuC+15], acc163 // copy acc to vreg[141]
v_accvgpr_read_b32 v[vgprValuC+16], acc71 // copy acc to vreg[142]
v_accvgpr_read_b32 v[vgprValuC+17], acc167 // copy acc to vreg[143]
s_nop 1                                            // 2 wait states required before reading vgpr

/* rC *= alpha batchElements=[(2, 1, 3, 0), (2, 1, 3, 1), (2, 2, 3, 0), (2, 2, 3, 1)] */

/* apply mask, calc new C and issue writes */
_buffer_store_b64 v[8:9], v6, s[sgprSrdD:sgprSrdD+3], 0, offen, offset:0 // store D
_buffer_store_b64 v[10:11], v7, s[sgprSrdD:sgprSrdD+3], 0, offen, offset:0 // store D
	;; [unrolled: 1-line block ×4, first 2 shown]
s_nop 0                                            // 1 wait state required when next inst writes vgprs held by previous dwordx4 store inst
/* optSingleColVgpr=0 optSharedColVgpr=0 optSGPRUsage=BufferLoad_Edge_Mask optSrdIncForRow=0 */

/******************************************/
/* Global Write Alpha Edge Batch #18 (d1,d0,vc1,vc0) = */
/*    (3,0,0,0:vw1); (3,0,0,1:vw1); (3,1,0,0:vw1); (3,1,0,1:vw1) */
/******************************************/

/* calc coords, apply mask, and issue loads (if necessary) */
/* (d1,vc1,d0,vc0)=(3,0,0,0) */
_v_add_co_u32 v1, vcc, v1, 61                      // coord1.1: coord1Vgpr += d1*sg1*VW + vc1

/* Fix for UseInitialStridesCD, emitAddressSetupCode */
s_mul_i32 s58, s[sgprStrideC1J], 61                // scale stride
_v_add_u32 v2, v2, s58                             // ROWINC- Move cinRowPtr to next row
s_mul_i32 s58, s[sgprStrideD1J], 61                // scale stride
_v_add_u32 v3, v3, s58                             // Move coutRowPtr to next row
v_cmp_lt_u32 s[58:59], v0, s[sgprSizeI]            // coord0 < size0
v_cmp_lt_u32 s[62:63], v1, s[sgprSizeJ]            // coord1 < size1
s_and_b64 s[62:63], s[58:59], s[62:63]             // in0 && in1
_v_add_lshl_u32 v6, v3, v0, 0x3                    // scaleToBpe: accumulate d0 lower and *= bpe into Cin addr
v_cndmask_b32 v6, -1, v6, s[62:63]                 // LDD clip if OOB. offset
/* (d1,vc1,d0,vc0)=(3,0,0,1) */
_v_add_co_u32 v4, vcc, v0, 1                       // coord0.1: coord0 += d0*sg0*VW + vc0
v_cmp_lt_u32 s[58:59], v4, s[sgprSizeI]            // coord0 < size0
v_cmp_lt_u32 s[62:63], v1, s[sgprSizeJ]            // coord1 < size1
s_and_b64 s[62:63], s[58:59], s[62:63]             // in0 && in1
_v_add_lshl_u32 v7, v3, v4, 0x3                    // scaleToBpe: accumulate d0 lower and *= bpe into Cin addr
v_cndmask_b32 v7, -1, v7, s[62:63]                 // LDD clip if OOB. offset
/* (d1,vc1,d0,vc0)=(3,0,1,0) */
_v_add_co_u32 v4, vcc, v0, 32                      // coord0.1: coord0 += d0*sg0*VW + vc0
v_cmp_lt_u32 s[58:59], v4, s[sgprSizeI]            // coord0 < size0
v_cmp_lt_u32 s[62:63], v1, s[sgprSizeJ]            // coord1 < size1
s_and_b64 s[62:63], s[58:59], s[62:63]             // in0 && in1
_v_add_lshl_u32 v12, v3, v4, 0x3                   // scaleToBpe: accumulate d0 lower and *= bpe into Cin addr
v_cndmask_b32 v12, -1, v12, s[62:63]               // LDD clip if OOB. offset
/* (d1,vc1,d0,vc0)=(3,0,1,1) */
_v_add_co_u32 v4, vcc, v0, 33                      // coord0.1: coord0 += d0*sg0*VW + vc0
v_cmp_lt_u32 s[58:59], v4, s[sgprSizeI]            // coord0 < size0
v_cmp_lt_u32 s[62:63], v1, s[sgprSizeJ]            // coord1 < size1
s_and_b64 s[62:63], s[58:59], s[62:63]             // in0 && in1
_v_add_lshl_u32 v13, v3, v4, 0x3                   // scaleToBpe: accumulate d0 lower and *= bpe into Cin addr
v_cndmask_b32 v13, -1, v13, s[62:63]               // LDD clip if OOB. offset
v_accvgpr_read_b32 v[vgprValuC+8], acc72 // copy acc to vreg[144]
v_accvgpr_read_b32 v[vgprValuC+9], acc168 // copy acc to vreg[145]
v_accvgpr_read_b32 v[vgprValuC+10], acc76 // copy acc to vreg[146]
v_accvgpr_read_b32 v[vgprValuC+11], acc172 // copy acc to vreg[147]
v_accvgpr_read_b32 v[vgprValuC+14], acc80 // copy acc to vreg[148]
v_accvgpr_read_b32 v[vgprValuC+15], acc176 // copy acc to vreg[149]
v_accvgpr_read_b32 v[vgprValuC+16], acc84 // copy acc to vreg[150]
v_accvgpr_read_b32 v[vgprValuC+17], acc180 // copy acc to vreg[151]
s_nop 1                                            // 2 wait states required before reading vgpr

/* rC *= alpha batchElements=[(3, 0, 0, 0), (3, 0, 0, 1), (3, 1, 0, 0), (3, 1, 0, 1)] */

/* apply mask, calc new C and issue writes */
_buffer_store_b64 v[8:9], v6, s[sgprSrdD:sgprSrdD+3], 0, offen, offset:0 // store D
_buffer_store_b64 v[10:11], v7, s[sgprSrdD:sgprSrdD+3], 0, offen, offset:0 // store D
	;; [unrolled: 1-line block ×4, first 2 shown]
s_nop 0                                            // 1 wait state required when next inst writes vgprs held by previous dwordx4 store inst
/* optSingleColVgpr=0 optSharedColVgpr=0 optSGPRUsage=BufferLoad_Edge_Mask optSrdIncForRow=0 */

/******************************************/
/* Global Write Alpha Edge Batch #19 (d1,d0,vc1,vc0) = */
/*    (3,2,0,0:vw1); (3,2,0,1:vw1); (3,0,1,0:vw1); (3,0,1,1:vw1) */
/******************************************/

/* calc coords, apply mask, and issue loads (if necessary) */
/* (d1,vc1,d0,vc0)=(3,0,2,0) */
_v_add_co_u32 v4, vcc, v0, 64                      // coord0.1: coord0 += d0*sg0*VW + vc0
v_cmp_lt_u32 s[58:59], v4, s[sgprSizeI]            // coord0 < size0
v_cmp_lt_u32 s[62:63], v1, s[sgprSizeJ]            // coord1 < size1
s_and_b64 s[62:63], s[58:59], s[62:63]             // in0 && in1
_v_add_lshl_u32 v6, v3, v4, 0x3                    // scaleToBpe: accumulate d0 lower and *= bpe into Cin addr
v_cndmask_b32 v6, -1, v6, s[62:63]                 // LDD clip if OOB. offset
/* (d1,vc1,d0,vc0)=(3,0,2,1) */
s_mov_b32 s58, 65                                  // coordOffset0 d0=2 vc0=1
_v_add_co_u32 v4, vcc, v0, s58                     // coord0.2: coord0 += d0*sg0*VW + vc0
v_cmp_lt_u32 s[58:59], v4, s[sgprSizeI]            // coord0 < size0
v_cmp_lt_u32 s[62:63], v1, s[sgprSizeJ]            // coord1 < size1
s_and_b64 s[62:63], s[58:59], s[62:63]             // in0 && in1
_v_add_lshl_u32 v7, v3, v4, 0x3                    // scaleToBpe: accumulate d0 lower and *= bpe into Cin addr
v_cndmask_b32 v7, -1, v7, s[62:63]                 // LDD clip if OOB. offset
/* (d1,vc1,d0,vc0)=(3,1,0,0) */
_v_add_co_u32 v1, vcc, v1, 1                       // coord1.1: coord1Vgpr += d1*sg1*VW + vc1

/* Fix for UseInitialStridesCD, emitAddressSetupCode */
_v_add_u32 v2, v2, s[sgprStrideC1J]                // ROWINC- Move cinRowPtr to next row
_v_add_u32 v3, v3, s[sgprStrideD1J]                // Move coutRowPtr to next row
v_cmp_lt_u32 s[58:59], v0, s[sgprSizeI]            // coord0 < size0
v_cmp_lt_u32 s[62:63], v1, s[sgprSizeJ]            // coord1 < size1
s_and_b64 s[62:63], s[58:59], s[62:63]             // in0 && in1
_v_add_lshl_u32 v12, v3, v0, 0x3                   // scaleToBpe: accumulate d0 lower and *= bpe into Cin addr
v_cndmask_b32 v12, -1, v12, s[62:63]               // LDD clip if OOB. offset
/* (d1,vc1,d0,vc0)=(3,1,0,1) */
_v_add_co_u32 v4, vcc, v0, 1                       // coord0.1: coord0 += d0*sg0*VW + vc0
v_cmp_lt_u32 s[58:59], v4, s[sgprSizeI]            // coord0 < size0
v_cmp_lt_u32 s[62:63], v1, s[sgprSizeJ]            // coord1 < size1
s_and_b64 s[62:63], s[58:59], s[62:63]             // in0 && in1
_v_add_lshl_u32 v13, v3, v4, 0x3                   // scaleToBpe: accumulate d0 lower and *= bpe into Cin addr
v_cndmask_b32 v13, -1, v13, s[62:63]               // LDD clip if OOB. offset
v_accvgpr_read_b32 v[vgprValuC+8], acc88 // copy acc to vreg[152]
v_accvgpr_read_b32 v[vgprValuC+9], acc184 // copy acc to vreg[153]
v_accvgpr_read_b32 v[vgprValuC+10], acc92 // copy acc to vreg[154]
v_accvgpr_read_b32 v[vgprValuC+11], acc188 // copy acc to vreg[155]
v_accvgpr_read_b32 v[vgprValuC+14], acc73 // copy acc to vreg[156]
v_accvgpr_read_b32 v[vgprValuC+15], acc169 // copy acc to vreg[157]
v_accvgpr_read_b32 v[vgprValuC+16], acc77 // copy acc to vreg[158]
v_accvgpr_read_b32 v[vgprValuC+17], acc173 // copy acc to vreg[159]
s_nop 1                                            // 2 wait states required before reading vgpr

/* rC *= alpha batchElements=[(3, 2, 0, 0), (3, 2, 0, 1), (3, 0, 1, 0), (3, 0, 1, 1)] */

/* apply mask, calc new C and issue writes */
_buffer_store_b64 v[8:9], v6, s[sgprSrdD:sgprSrdD+3], 0, offen, offset:0 // store D
_buffer_store_b64 v[10:11], v7, s[sgprSrdD:sgprSrdD+3], 0, offen, offset:0 // store D
	;; [unrolled: 1-line block ×4, first 2 shown]
s_nop 0                                            // 1 wait state required when next inst writes vgprs held by previous dwordx4 store inst
/* optSingleColVgpr=0 optSharedColVgpr=0 optSGPRUsage=BufferLoad_Edge_Mask optSrdIncForRow=0 */

/******************************************/
/* Global Write Alpha Edge Batch #20 (d1,d0,vc1,vc0) = */
/*    (3,1,1,0:vw1); (3,1,1,1:vw1); (3,2,1,0:vw1); (3,2,1,1:vw1) */
/******************************************/

/* calc coords, apply mask, and issue loads (if necessary) */
/* (d1,vc1,d0,vc0)=(3,1,1,0) */
_v_add_co_u32 v4, vcc, v0, 32                      // coord0.1: coord0 += d0*sg0*VW + vc0
v_cmp_lt_u32 s[58:59], v4, s[sgprSizeI]            // coord0 < size0
v_cmp_lt_u32 s[62:63], v1, s[sgprSizeJ]            // coord1 < size1
s_and_b64 s[62:63], s[58:59], s[62:63]             // in0 && in1
_v_add_lshl_u32 v6, v3, v4, 0x3                    // scaleToBpe: accumulate d0 lower and *= bpe into Cin addr
v_cndmask_b32 v6, -1, v6, s[62:63]                 // LDD clip if OOB. offset
/* (d1,vc1,d0,vc0)=(3,1,1,1) */
_v_add_co_u32 v4, vcc, v0, 33                      // coord0.1: coord0 += d0*sg0*VW + vc0
v_cmp_lt_u32 s[58:59], v4, s[sgprSizeI]            // coord0 < size0
v_cmp_lt_u32 s[62:63], v1, s[sgprSizeJ]            // coord1 < size1
s_and_b64 s[62:63], s[58:59], s[62:63]             // in0 && in1
_v_add_lshl_u32 v7, v3, v4, 0x3                    // scaleToBpe: accumulate d0 lower and *= bpe into Cin addr
v_cndmask_b32 v7, -1, v7, s[62:63]                 // LDD clip if OOB. offset
/* (d1,vc1,d0,vc0)=(3,1,2,0) */
_v_add_co_u32 v4, vcc, v0, 64                      // coord0.1: coord0 += d0*sg0*VW + vc0
v_cmp_lt_u32 s[58:59], v4, s[sgprSizeI]            // coord0 < size0
v_cmp_lt_u32 s[62:63], v1, s[sgprSizeJ]            // coord1 < size1
s_and_b64 s[62:63], s[58:59], s[62:63]             // in0 && in1
_v_add_lshl_u32 v12, v3, v4, 0x3                   // scaleToBpe: accumulate d0 lower and *= bpe into Cin addr
v_cndmask_b32 v12, -1, v12, s[62:63]               // LDD clip if OOB. offset
/* (d1,vc1,d0,vc0)=(3,1,2,1) */
s_mov_b32 s58, 65                                  // coordOffset0 d0=2 vc0=1
_v_add_co_u32 v4, vcc, v0, s58                     // coord0.2: coord0 += d0*sg0*VW + vc0
v_cmp_lt_u32 s[58:59], v4, s[sgprSizeI]            // coord0 < size0
v_cmp_lt_u32 s[62:63], v1, s[sgprSizeJ]            // coord1 < size1
s_and_b64 s[62:63], s[58:59], s[62:63]             // in0 && in1
_v_add_lshl_u32 v13, v3, v4, 0x3                   // scaleToBpe: accumulate d0 lower and *= bpe into Cin addr
v_cndmask_b32 v13, -1, v13, s[62:63]               // LDD clip if OOB. offset
v_accvgpr_read_b32 v[vgprValuC+8], acc81 // copy acc to vreg[160]
v_accvgpr_read_b32 v[vgprValuC+9], acc177 // copy acc to vreg[161]
v_accvgpr_read_b32 v[vgprValuC+10], acc85 // copy acc to vreg[162]
v_accvgpr_read_b32 v[vgprValuC+11], acc181 // copy acc to vreg[163]
v_accvgpr_read_b32 v[vgprValuC+14], acc89 // copy acc to vreg[164]
v_accvgpr_read_b32 v[vgprValuC+15], acc185 // copy acc to vreg[165]
v_accvgpr_read_b32 v[vgprValuC+16], acc93 // copy acc to vreg[166]
v_accvgpr_read_b32 v[vgprValuC+17], acc189 // copy acc to vreg[167]
s_nop 1                                            // 2 wait states required before reading vgpr

/* rC *= alpha batchElements=[(3, 1, 1, 0), (3, 1, 1, 1), (3, 2, 1, 0), (3, 2, 1, 1)] */

/* apply mask, calc new C and issue writes */
_buffer_store_b64 v[8:9], v6, s[sgprSrdD:sgprSrdD+3], 0, offen, offset:0 // store D
_buffer_store_b64 v[10:11], v7, s[sgprSrdD:sgprSrdD+3], 0, offen, offset:0 // store D
_buffer_store_b64 v[14:15], v12, s[sgprSrdD:sgprSrdD+3], 0, offen, offset:0 // store D
_buffer_store_b64 v[16:17], v13, s[sgprSrdD:sgprSrdD+3], 0, offen, offset:0 // store D
s_nop 0                                            // 1 wait state required when next inst writes vgprs held by previous dwordx4 store inst
/* optSingleColVgpr=0 optSharedColVgpr=0 optSGPRUsage=BufferLoad_Edge_Mask optSrdIncForRow=0 */

/******************************************/
/* Global Write Alpha Edge Batch #21 (d1,d0,vc1,vc0) = */
/*    (3,0,2,0:vw1); (3,0,2,1:vw1); (3,1,2,0:vw1); (3,1,2,1:vw1) */
/******************************************/

/* calc coords, apply mask, and issue loads (if necessary) */
/* (d1,vc1,d0,vc0)=(3,2,0,0) */
_v_add_co_u32 v1, vcc, v1, 1                       // coord1.1: coord1Vgpr += d1*sg1*VW + vc1

/* Fix for UseInitialStridesCD, emitAddressSetupCode */
_v_add_u32 v2, v2, s[sgprStrideC1J]                // ROWINC- Move cinRowPtr to next row
_v_add_u32 v3, v3, s[sgprStrideD1J]                // Move coutRowPtr to next row
v_cmp_lt_u32 s[58:59], v0, s[sgprSizeI]            // coord0 < size0
v_cmp_lt_u32 s[62:63], v1, s[sgprSizeJ]            // coord1 < size1
s_and_b64 s[62:63], s[58:59], s[62:63]             // in0 && in1
_v_add_lshl_u32 v6, v3, v0, 0x3                    // scaleToBpe: accumulate d0 lower and *= bpe into Cin addr
v_cndmask_b32 v6, -1, v6, s[62:63]                 // LDD clip if OOB. offset
/* (d1,vc1,d0,vc0)=(3,2,0,1) */
_v_add_co_u32 v4, vcc, v0, 1                       // coord0.1: coord0 += d0*sg0*VW + vc0
v_cmp_lt_u32 s[58:59], v4, s[sgprSizeI]            // coord0 < size0
v_cmp_lt_u32 s[62:63], v1, s[sgprSizeJ]            // coord1 < size1
s_and_b64 s[62:63], s[58:59], s[62:63]             // in0 && in1
_v_add_lshl_u32 v7, v3, v4, 0x3                    // scaleToBpe: accumulate d0 lower and *= bpe into Cin addr
v_cndmask_b32 v7, -1, v7, s[62:63]                 // LDD clip if OOB. offset
/* (d1,vc1,d0,vc0)=(3,2,1,0) */
_v_add_co_u32 v4, vcc, v0, 32                      // coord0.1: coord0 += d0*sg0*VW + vc0
v_cmp_lt_u32 s[58:59], v4, s[sgprSizeI]            // coord0 < size0
v_cmp_lt_u32 s[62:63], v1, s[sgprSizeJ]            // coord1 < size1
s_and_b64 s[62:63], s[58:59], s[62:63]             // in0 && in1
_v_add_lshl_u32 v12, v3, v4, 0x3                   // scaleToBpe: accumulate d0 lower and *= bpe into Cin addr
v_cndmask_b32 v12, -1, v12, s[62:63]               // LDD clip if OOB. offset
/* (d1,vc1,d0,vc0)=(3,2,1,1) */
_v_add_co_u32 v4, vcc, v0, 33                      // coord0.1: coord0 += d0*sg0*VW + vc0
v_cmp_lt_u32 s[58:59], v4, s[sgprSizeI]            // coord0 < size0
v_cmp_lt_u32 s[62:63], v1, s[sgprSizeJ]            // coord1 < size1
s_and_b64 s[62:63], s[58:59], s[62:63]             // in0 && in1
_v_add_lshl_u32 v13, v3, v4, 0x3                   // scaleToBpe: accumulate d0 lower and *= bpe into Cin addr
v_cndmask_b32 v13, -1, v13, s[62:63]               // LDD clip if OOB. offset
v_accvgpr_read_b32 v[vgprValuC+8], acc74 // copy acc to vreg[168]
v_accvgpr_read_b32 v[vgprValuC+9], acc170 // copy acc to vreg[169]
v_accvgpr_read_b32 v[vgprValuC+10], acc78 // copy acc to vreg[170]
v_accvgpr_read_b32 v[vgprValuC+11], acc174 // copy acc to vreg[171]
v_accvgpr_read_b32 v[vgprValuC+14], acc82 // copy acc to vreg[172]
v_accvgpr_read_b32 v[vgprValuC+15], acc178 // copy acc to vreg[173]
v_accvgpr_read_b32 v[vgprValuC+16], acc86 // copy acc to vreg[174]
v_accvgpr_read_b32 v[vgprValuC+17], acc182 // copy acc to vreg[175]
s_nop 1                                            // 2 wait states required before reading vgpr

/* rC *= alpha batchElements=[(3, 0, 2, 0), (3, 0, 2, 1), (3, 1, 2, 0), (3, 1, 2, 1)] */

/* apply mask, calc new C and issue writes */
_buffer_store_b64 v[8:9], v6, s[sgprSrdD:sgprSrdD+3], 0, offen, offset:0 // store D
_buffer_store_b64 v[10:11], v7, s[sgprSrdD:sgprSrdD+3], 0, offen, offset:0 // store D
	;; [unrolled: 1-line block ×4, first 2 shown]
s_nop 0                                            // 1 wait state required when next inst writes vgprs held by previous dwordx4 store inst
/* optSingleColVgpr=0 optSharedColVgpr=0 optSGPRUsage=BufferLoad_Edge_Mask optSrdIncForRow=0 */

/******************************************/
/* Global Write Alpha Edge Batch #22 (d1,d0,vc1,vc0) = */
/*    (3,2,2,0:vw1); (3,2,2,1:vw1); (3,0,3,0:vw1); (3,0,3,1:vw1) */
/******************************************/

/* calc coords, apply mask, and issue loads (if necessary) */
/* (d1,vc1,d0,vc0)=(3,2,2,0) */
_v_add_co_u32 v4, vcc, v0, 64                      // coord0.1: coord0 += d0*sg0*VW + vc0
v_cmp_lt_u32 s[58:59], v4, s[sgprSizeI]            // coord0 < size0
v_cmp_lt_u32 s[62:63], v1, s[sgprSizeJ]            // coord1 < size1
s_and_b64 s[62:63], s[58:59], s[62:63]             // in0 && in1
_v_add_lshl_u32 v6, v3, v4, 0x3                    // scaleToBpe: accumulate d0 lower and *= bpe into Cin addr
v_cndmask_b32 v6, -1, v6, s[62:63]                 // LDD clip if OOB. offset
/* (d1,vc1,d0,vc0)=(3,2,2,1) */
s_mov_b32 s58, 65                                  // coordOffset0 d0=2 vc0=1
_v_add_co_u32 v4, vcc, v0, s58                     // coord0.2: coord0 += d0*sg0*VW + vc0
v_cmp_lt_u32 s[58:59], v4, s[sgprSizeI]            // coord0 < size0
v_cmp_lt_u32 s[62:63], v1, s[sgprSizeJ]            // coord1 < size1
s_and_b64 s[62:63], s[58:59], s[62:63]             // in0 && in1
_v_add_lshl_u32 v7, v3, v4, 0x3                    // scaleToBpe: accumulate d0 lower and *= bpe into Cin addr
v_cndmask_b32 v7, -1, v7, s[62:63]                 // LDD clip if OOB. offset
/* (d1,vc1,d0,vc0)=(3,3,0,0) */
_v_add_co_u32 v1, vcc, v1, 1                       // coord1.1: coord1Vgpr += d1*sg1*VW + vc1

/* Fix for UseInitialStridesCD, emitAddressSetupCode */
_v_add_u32 v2, v2, s[sgprStrideC1J]                // ROWINC- Move cinRowPtr to next row
_v_add_u32 v3, v3, s[sgprStrideD1J]                // Move coutRowPtr to next row
v_cmp_lt_u32 s[58:59], v0, s[sgprSizeI]            // coord0 < size0
v_cmp_lt_u32 s[62:63], v1, s[sgprSizeJ]            // coord1 < size1
s_and_b64 s[62:63], s[58:59], s[62:63]             // in0 && in1
_v_add_lshl_u32 v12, v3, v0, 0x3                   // scaleToBpe: accumulate d0 lower and *= bpe into Cin addr
v_cndmask_b32 v12, -1, v12, s[62:63]               // LDD clip if OOB. offset
/* (d1,vc1,d0,vc0)=(3,3,0,1) */
_v_add_co_u32 v4, vcc, v0, 1                       // coord0.1: coord0 += d0*sg0*VW + vc0
v_cmp_lt_u32 s[58:59], v4, s[sgprSizeI]            // coord0 < size0
v_cmp_lt_u32 s[62:63], v1, s[sgprSizeJ]            // coord1 < size1
s_and_b64 s[62:63], s[58:59], s[62:63]             // in0 && in1
_v_add_lshl_u32 v13, v3, v4, 0x3                   // scaleToBpe: accumulate d0 lower and *= bpe into Cin addr
v_cndmask_b32 v13, -1, v13, s[62:63]               // LDD clip if OOB. offset
v_accvgpr_read_b32 v[vgprValuC+8], acc90 // copy acc to vreg[176]
v_accvgpr_read_b32 v[vgprValuC+9], acc186 // copy acc to vreg[177]
v_accvgpr_read_b32 v[vgprValuC+10], acc94 // copy acc to vreg[178]
v_accvgpr_read_b32 v[vgprValuC+11], acc190 // copy acc to vreg[179]
v_accvgpr_read_b32 v[vgprValuC+14], acc75 // copy acc to vreg[180]
v_accvgpr_read_b32 v[vgprValuC+15], acc171 // copy acc to vreg[181]
v_accvgpr_read_b32 v[vgprValuC+16], acc79 // copy acc to vreg[182]
v_accvgpr_read_b32 v[vgprValuC+17], acc175 // copy acc to vreg[183]
s_nop 1                                            // 2 wait states required before reading vgpr

/* rC *= alpha batchElements=[(3, 2, 2, 0), (3, 2, 2, 1), (3, 0, 3, 0), (3, 0, 3, 1)] */

/* apply mask, calc new C and issue writes */
_buffer_store_b64 v[8:9], v6, s[sgprSrdD:sgprSrdD+3], 0, offen, offset:0 // store D
_buffer_store_b64 v[10:11], v7, s[sgprSrdD:sgprSrdD+3], 0, offen, offset:0 // store D
	;; [unrolled: 1-line block ×4, first 2 shown]
s_nop 0                                            // 1 wait state required when next inst writes vgprs held by previous dwordx4 store inst
/* optSingleColVgpr=0 optSharedColVgpr=0 optSGPRUsage=BufferLoad_Edge_Mask optSrdIncForRow=0 */

/******************************************/
/* Global Write Alpha Edge Batch #23 (d1,d0,vc1,vc0) = */
/*    (3,1,3,0:vw1); (3,1,3,1:vw1); (3,2,3,0:vw1); (3,2,3,1:vw1) */
/******************************************/

/* calc coords, apply mask, and issue loads (if necessary) */
/* (d1,vc1,d0,vc0)=(3,3,1,0) */
_v_add_co_u32 v4, vcc, v0, 32                      // coord0.1: coord0 += d0*sg0*VW + vc0
v_cmp_lt_u32 s[58:59], v4, s[sgprSizeI]            // coord0 < size0
v_cmp_lt_u32 s[62:63], v1, s[sgprSizeJ]            // coord1 < size1
s_and_b64 s[62:63], s[58:59], s[62:63]             // in0 && in1
_v_add_lshl_u32 v6, v3, v4, 0x3                    // scaleToBpe: accumulate d0 lower and *= bpe into Cin addr
v_cndmask_b32 v6, -1, v6, s[62:63]                 // LDD clip if OOB. offset
/* (d1,vc1,d0,vc0)=(3,3,1,1) */
_v_add_co_u32 v4, vcc, v0, 33                      // coord0.1: coord0 += d0*sg0*VW + vc0
v_cmp_lt_u32 s[58:59], v4, s[sgprSizeI]            // coord0 < size0
v_cmp_lt_u32 s[62:63], v1, s[sgprSizeJ]            // coord1 < size1
s_and_b64 s[62:63], s[58:59], s[62:63]             // in0 && in1
_v_add_lshl_u32 v7, v3, v4, 0x3                    // scaleToBpe: accumulate d0 lower and *= bpe into Cin addr
v_cndmask_b32 v7, -1, v7, s[62:63]                 // LDD clip if OOB. offset
/* (d1,vc1,d0,vc0)=(3,3,2,0) */
_v_add_co_u32 v4, vcc, v0, 64                      // coord0.1: coord0 += d0*sg0*VW + vc0
v_cmp_lt_u32 s[58:59], v4, s[sgprSizeI]            // coord0 < size0
v_cmp_lt_u32 s[62:63], v1, s[sgprSizeJ]            // coord1 < size1
s_and_b64 s[62:63], s[58:59], s[62:63]             // in0 && in1
_v_add_lshl_u32 v12, v3, v4, 0x3                   // scaleToBpe: accumulate d0 lower and *= bpe into Cin addr
v_cndmask_b32 v12, -1, v12, s[62:63]               // LDD clip if OOB. offset
/* (d1,vc1,d0,vc0)=(3,3,2,1) */
s_mov_b32 s58, 65                                  // coordOffset0 d0=2 vc0=1
_v_add_co_u32 v4, vcc, v0, s58                     // coord0.2: coord0 += d0*sg0*VW + vc0
v_cmp_lt_u32 s[58:59], v4, s[sgprSizeI]            // coord0 < size0
v_cmp_lt_u32 s[62:63], v1, s[sgprSizeJ]            // coord1 < size1
s_and_b64 s[62:63], s[58:59], s[62:63]             // in0 && in1
_v_add_lshl_u32 v13, v3, v4, 0x3                   // scaleToBpe: accumulate d0 lower and *= bpe into Cin addr
v_cndmask_b32 v13, -1, v13, s[62:63]               // LDD clip if OOB. offset
v_accvgpr_read_b32 v[vgprValuC+8], acc83 // copy acc to vreg[184]
v_accvgpr_read_b32 v[vgprValuC+9], acc179 // copy acc to vreg[185]
v_accvgpr_read_b32 v[vgprValuC+10], acc87 // copy acc to vreg[186]
v_accvgpr_read_b32 v[vgprValuC+11], acc183 // copy acc to vreg[187]
v_accvgpr_read_b32 v[vgprValuC+14], acc91 // copy acc to vreg[188]
v_accvgpr_read_b32 v[vgprValuC+15], acc187 // copy acc to vreg[189]
v_accvgpr_read_b32 v[vgprValuC+16], acc95 // copy acc to vreg[190]
v_accvgpr_read_b32 v[vgprValuC+17], acc191 // copy acc to vreg[191]
s_nop 1                                            // 2 wait states required before reading vgpr

/* rC *= alpha batchElements=[(3, 1, 3, 0), (3, 1, 3, 1), (3, 2, 3, 0), (3, 2, 3, 1)] */

/* apply mask, calc new C and issue writes */
_buffer_store_b64 v[8:9], v6, s[sgprSrdD:sgprSrdD+3], 0, offen, offset:0 // store D
_buffer_store_b64 v[10:11], v7, s[sgprSrdD:sgprSrdD+3], 0, offen, offset:0 // store D
	;; [unrolled: 1-line block ×4, first 2 shown]
s_nop 0                                            // 1 wait state required when next inst writes vgprs held by previous dwordx4 store inst
s_branch label_GW_End_27                           // jump to end
label_GW_End_27:

label_0032:  /// KernelEnd
s_endpgm                                           // Kernel End

